;; amdgpu-corpus repo=ROCm/rocFFT kind=compiled arch=gfx906 opt=O3
	.text
	.amdgcn_target "amdgcn-amd-amdhsa--gfx906"
	.amdhsa_code_object_version 6
	.protected	fft_rtc_back_len1870_factors_17_10_11_wgs_187_tpt_187_halfLds_dp_op_CI_CI_unitstride_sbrr_R2C_dirReg ; -- Begin function fft_rtc_back_len1870_factors_17_10_11_wgs_187_tpt_187_halfLds_dp_op_CI_CI_unitstride_sbrr_R2C_dirReg
	.globl	fft_rtc_back_len1870_factors_17_10_11_wgs_187_tpt_187_halfLds_dp_op_CI_CI_unitstride_sbrr_R2C_dirReg
	.p2align	8
	.type	fft_rtc_back_len1870_factors_17_10_11_wgs_187_tpt_187_halfLds_dp_op_CI_CI_unitstride_sbrr_R2C_dirReg,@function
fft_rtc_back_len1870_factors_17_10_11_wgs_187_tpt_187_halfLds_dp_op_CI_CI_unitstride_sbrr_R2C_dirReg: ; @fft_rtc_back_len1870_factors_17_10_11_wgs_187_tpt_187_halfLds_dp_op_CI_CI_unitstride_sbrr_R2C_dirReg
; %bb.0:
	s_load_dwordx4 s[8:11], s[4:5], 0x58
	s_load_dwordx4 s[12:15], s[4:5], 0x0
	;; [unrolled: 1-line block ×3, first 2 shown]
	v_mul_u32_u24_e32 v1, 0x15f, v0
	v_add_u32_sdwa v5, s6, v1 dst_sel:DWORD dst_unused:UNUSED_PAD src0_sel:DWORD src1_sel:WORD_1
	v_mov_b32_e32 v3, 0
	s_waitcnt lgkmcnt(0)
	v_cmp_lt_u64_e64 s[0:1], s[14:15], 2
	v_mov_b32_e32 v1, 0
	v_mov_b32_e32 v6, v3
	s_and_b64 vcc, exec, s[0:1]
	v_mov_b32_e32 v2, 0
	s_cbranch_vccnz .LBB0_8
; %bb.1:
	s_load_dwordx2 s[0:1], s[4:5], 0x10
	s_add_u32 s2, s18, 8
	s_addc_u32 s3, s19, 0
	s_add_u32 s6, s16, 8
	v_mov_b32_e32 v1, 0
	s_addc_u32 s7, s17, 0
	v_mov_b32_e32 v2, 0
	s_waitcnt lgkmcnt(0)
	s_add_u32 s20, s0, 8
	v_mov_b32_e32 v105, v2
	s_addc_u32 s21, s1, 0
	s_mov_b64 s[22:23], 1
	v_mov_b32_e32 v104, v1
.LBB0_2:                                ; =>This Inner Loop Header: Depth=1
	s_load_dwordx2 s[24:25], s[20:21], 0x0
                                        ; implicit-def: $vgpr108_vgpr109
	s_waitcnt lgkmcnt(0)
	v_or_b32_e32 v4, s25, v6
	v_cmp_ne_u64_e32 vcc, 0, v[3:4]
	s_and_saveexec_b64 s[0:1], vcc
	s_xor_b64 s[26:27], exec, s[0:1]
	s_cbranch_execz .LBB0_4
; %bb.3:                                ;   in Loop: Header=BB0_2 Depth=1
	v_cvt_f32_u32_e32 v4, s24
	v_cvt_f32_u32_e32 v7, s25
	s_sub_u32 s0, 0, s24
	s_subb_u32 s1, 0, s25
	v_mac_f32_e32 v4, 0x4f800000, v7
	v_rcp_f32_e32 v4, v4
	v_mul_f32_e32 v4, 0x5f7ffffc, v4
	v_mul_f32_e32 v7, 0x2f800000, v4
	v_trunc_f32_e32 v7, v7
	v_mac_f32_e32 v4, 0xcf800000, v7
	v_cvt_u32_f32_e32 v7, v7
	v_cvt_u32_f32_e32 v4, v4
	v_mul_lo_u32 v8, s0, v7
	v_mul_hi_u32 v9, s0, v4
	v_mul_lo_u32 v11, s1, v4
	v_mul_lo_u32 v10, s0, v4
	v_add_u32_e32 v8, v9, v8
	v_add_u32_e32 v8, v8, v11
	v_mul_hi_u32 v9, v4, v10
	v_mul_lo_u32 v11, v4, v8
	v_mul_hi_u32 v13, v4, v8
	v_mul_hi_u32 v12, v7, v10
	v_mul_lo_u32 v10, v7, v10
	v_mul_hi_u32 v14, v7, v8
	v_add_co_u32_e32 v9, vcc, v9, v11
	v_addc_co_u32_e32 v11, vcc, 0, v13, vcc
	v_mul_lo_u32 v8, v7, v8
	v_add_co_u32_e32 v9, vcc, v9, v10
	v_addc_co_u32_e32 v9, vcc, v11, v12, vcc
	v_addc_co_u32_e32 v10, vcc, 0, v14, vcc
	v_add_co_u32_e32 v8, vcc, v9, v8
	v_addc_co_u32_e32 v9, vcc, 0, v10, vcc
	v_add_co_u32_e32 v4, vcc, v4, v8
	v_addc_co_u32_e32 v7, vcc, v7, v9, vcc
	v_mul_lo_u32 v8, s0, v7
	v_mul_hi_u32 v9, s0, v4
	v_mul_lo_u32 v10, s1, v4
	v_mul_lo_u32 v11, s0, v4
	v_add_u32_e32 v8, v9, v8
	v_add_u32_e32 v8, v8, v10
	v_mul_lo_u32 v12, v4, v8
	v_mul_hi_u32 v13, v4, v11
	v_mul_hi_u32 v14, v4, v8
	v_mul_hi_u32 v10, v7, v11
	v_mul_lo_u32 v11, v7, v11
	v_mul_hi_u32 v9, v7, v8
	v_add_co_u32_e32 v12, vcc, v13, v12
	v_addc_co_u32_e32 v13, vcc, 0, v14, vcc
	v_mul_lo_u32 v8, v7, v8
	v_add_co_u32_e32 v11, vcc, v12, v11
	v_addc_co_u32_e32 v10, vcc, v13, v10, vcc
	v_addc_co_u32_e32 v9, vcc, 0, v9, vcc
	v_add_co_u32_e32 v8, vcc, v10, v8
	v_addc_co_u32_e32 v9, vcc, 0, v9, vcc
	v_add_co_u32_e32 v4, vcc, v4, v8
	v_addc_co_u32_e32 v9, vcc, v7, v9, vcc
	v_mad_u64_u32 v[7:8], s[0:1], v5, v9, 0
	v_mul_hi_u32 v10, v5, v4
	v_add_co_u32_e32 v11, vcc, v10, v7
	v_addc_co_u32_e32 v12, vcc, 0, v8, vcc
	v_mad_u64_u32 v[7:8], s[0:1], v6, v4, 0
	v_mad_u64_u32 v[9:10], s[0:1], v6, v9, 0
	v_add_co_u32_e32 v4, vcc, v11, v7
	v_addc_co_u32_e32 v4, vcc, v12, v8, vcc
	v_addc_co_u32_e32 v7, vcc, 0, v10, vcc
	v_add_co_u32_e32 v4, vcc, v4, v9
	v_addc_co_u32_e32 v9, vcc, 0, v7, vcc
	v_mul_lo_u32 v10, s25, v4
	v_mul_lo_u32 v11, s24, v9
	v_mad_u64_u32 v[7:8], s[0:1], s24, v4, 0
	v_add3_u32 v8, v8, v11, v10
	v_sub_u32_e32 v10, v6, v8
	v_mov_b32_e32 v11, s25
	v_sub_co_u32_e32 v7, vcc, v5, v7
	v_subb_co_u32_e64 v10, s[0:1], v10, v11, vcc
	v_subrev_co_u32_e64 v11, s[0:1], s24, v7
	v_subbrev_co_u32_e64 v10, s[0:1], 0, v10, s[0:1]
	v_cmp_le_u32_e64 s[0:1], s25, v10
	v_cndmask_b32_e64 v12, 0, -1, s[0:1]
	v_cmp_le_u32_e64 s[0:1], s24, v11
	v_cndmask_b32_e64 v11, 0, -1, s[0:1]
	v_cmp_eq_u32_e64 s[0:1], s25, v10
	v_cndmask_b32_e64 v10, v12, v11, s[0:1]
	v_add_co_u32_e64 v11, s[0:1], 2, v4
	v_addc_co_u32_e64 v12, s[0:1], 0, v9, s[0:1]
	v_add_co_u32_e64 v13, s[0:1], 1, v4
	v_addc_co_u32_e64 v14, s[0:1], 0, v9, s[0:1]
	v_subb_co_u32_e32 v8, vcc, v6, v8, vcc
	v_cmp_ne_u32_e64 s[0:1], 0, v10
	v_cmp_le_u32_e32 vcc, s25, v8
	v_cndmask_b32_e64 v10, v14, v12, s[0:1]
	v_cndmask_b32_e64 v12, 0, -1, vcc
	v_cmp_le_u32_e32 vcc, s24, v7
	v_cndmask_b32_e64 v7, 0, -1, vcc
	v_cmp_eq_u32_e32 vcc, s25, v8
	v_cndmask_b32_e32 v7, v12, v7, vcc
	v_cmp_ne_u32_e32 vcc, 0, v7
	v_cndmask_b32_e64 v7, v13, v11, s[0:1]
	v_cndmask_b32_e32 v109, v9, v10, vcc
	v_cndmask_b32_e32 v108, v4, v7, vcc
.LBB0_4:                                ;   in Loop: Header=BB0_2 Depth=1
	s_andn2_saveexec_b64 s[0:1], s[26:27]
	s_cbranch_execz .LBB0_6
; %bb.5:                                ;   in Loop: Header=BB0_2 Depth=1
	v_cvt_f32_u32_e32 v4, s24
	s_sub_i32 s26, 0, s24
	v_mov_b32_e32 v109, v3
	v_rcp_iflag_f32_e32 v4, v4
	v_mul_f32_e32 v4, 0x4f7ffffe, v4
	v_cvt_u32_f32_e32 v4, v4
	v_mul_lo_u32 v7, s26, v4
	v_mul_hi_u32 v7, v4, v7
	v_add_u32_e32 v4, v4, v7
	v_mul_hi_u32 v4, v5, v4
	v_mul_lo_u32 v7, v4, s24
	v_add_u32_e32 v8, 1, v4
	v_sub_u32_e32 v7, v5, v7
	v_subrev_u32_e32 v9, s24, v7
	v_cmp_le_u32_e32 vcc, s24, v7
	v_cndmask_b32_e32 v7, v7, v9, vcc
	v_cndmask_b32_e32 v4, v4, v8, vcc
	v_add_u32_e32 v8, 1, v4
	v_cmp_le_u32_e32 vcc, s24, v7
	v_cndmask_b32_e32 v108, v4, v8, vcc
.LBB0_6:                                ;   in Loop: Header=BB0_2 Depth=1
	s_or_b64 exec, exec, s[0:1]
	v_mul_lo_u32 v4, v109, s24
	v_mul_lo_u32 v9, v108, s25
	v_mad_u64_u32 v[7:8], s[0:1], v108, s24, 0
	s_load_dwordx2 s[0:1], s[6:7], 0x0
	s_load_dwordx2 s[24:25], s[2:3], 0x0
	v_add3_u32 v4, v8, v9, v4
	v_sub_co_u32_e32 v5, vcc, v5, v7
	v_subb_co_u32_e32 v4, vcc, v6, v4, vcc
	s_waitcnt lgkmcnt(0)
	v_mul_lo_u32 v6, s0, v4
	v_mul_lo_u32 v7, s1, v5
	v_mad_u64_u32 v[1:2], s[0:1], s0, v5, v[1:2]
	v_mul_lo_u32 v4, s24, v4
	v_mul_lo_u32 v8, s25, v5
	v_mad_u64_u32 v[104:105], s[0:1], s24, v5, v[104:105]
	s_add_u32 s22, s22, 1
	s_addc_u32 s23, s23, 0
	s_add_u32 s2, s2, 8
	v_add3_u32 v105, v8, v105, v4
	s_addc_u32 s3, s3, 0
	v_mov_b32_e32 v4, s14
	s_add_u32 s6, s6, 8
	v_mov_b32_e32 v5, s15
	s_addc_u32 s7, s7, 0
	v_cmp_ge_u64_e32 vcc, s[22:23], v[4:5]
	s_add_u32 s20, s20, 8
	v_add3_u32 v2, v7, v2, v6
	s_addc_u32 s21, s21, 0
	s_cbranch_vccnz .LBB0_9
; %bb.7:                                ;   in Loop: Header=BB0_2 Depth=1
	v_mov_b32_e32 v5, v108
	v_mov_b32_e32 v6, v109
	s_branch .LBB0_2
.LBB0_8:
	v_mov_b32_e32 v105, v2
	v_mov_b32_e32 v109, v6
	;; [unrolled: 1-line block ×4, first 2 shown]
.LBB0_9:
	s_load_dwordx2 s[4:5], s[4:5], 0x28
	s_lshl_b64 s[6:7], s[14:15], 3
	s_add_u32 s2, s18, s6
	s_addc_u32 s3, s19, s7
                                        ; implicit-def: $vgpr106
	s_waitcnt lgkmcnt(0)
	v_cmp_gt_u64_e64 s[0:1], s[4:5], v[108:109]
	v_cmp_le_u64_e32 vcc, s[4:5], v[108:109]
	s_and_saveexec_b64 s[4:5], vcc
	s_xor_b64 s[4:5], exec, s[4:5]
; %bb.10:
	s_mov_b32 s14, 0x15e75bc
	v_mul_hi_u32 v1, v0, s14
	v_mul_u32_u24_e32 v1, 0xbb, v1
	v_sub_u32_e32 v106, v0, v1
                                        ; implicit-def: $vgpr0
                                        ; implicit-def: $vgpr1_vgpr2
; %bb.11:
	s_andn2_saveexec_b64 s[4:5], s[4:5]
	s_cbranch_execz .LBB0_13
; %bb.12:
	s_add_u32 s6, s16, s6
	s_addc_u32 s7, s17, s7
	s_load_dwordx2 s[6:7], s[6:7], 0x0
	s_mov_b32 s14, 0x15e75bc
	v_mul_hi_u32 v5, v0, s14
	s_waitcnt lgkmcnt(0)
	v_mul_lo_u32 v6, s7, v108
	v_mul_lo_u32 v7, s6, v109
	v_mad_u64_u32 v[3:4], s[6:7], s6, v108, 0
	v_mul_u32_u24_e32 v5, 0xbb, v5
	v_sub_u32_e32 v106, v0, v5
	v_add3_u32 v4, v4, v7, v6
	v_lshlrev_b64 v[3:4], 4, v[3:4]
	v_mov_b32_e32 v0, s9
	v_add_co_u32_e32 v3, vcc, s8, v3
	v_addc_co_u32_e32 v4, vcc, v0, v4, vcc
	v_lshlrev_b64 v[0:1], 4, v[1:2]
	v_lshlrev_b32_e32 v44, 4, v106
	v_add_co_u32_e32 v0, vcc, v3, v0
	v_addc_co_u32_e32 v1, vcc, v4, v1, vcc
	v_add_co_u32_e32 v31, vcc, v0, v44
	v_addc_co_u32_e32 v32, vcc, 0, v1, vcc
	s_movk_i32 s6, 0x1000
	v_add_co_u32_e32 v16, vcc, s6, v31
	s_movk_i32 s7, 0x2000
	v_addc_co_u32_e32 v17, vcc, 0, v32, vcc
	v_add_co_u32_e32 v24, vcc, s7, v31
	v_addc_co_u32_e32 v25, vcc, 0, v32, vcc
	s_movk_i32 s6, 0x3000
	v_add_co_u32_e32 v26, vcc, s6, v31
	s_movk_i32 s7, 0x4000
	v_addc_co_u32_e32 v27, vcc, 0, v32, vcc
	v_add_co_u32_e32 v33, vcc, s7, v31
	v_addc_co_u32_e32 v34, vcc, 0, v32, vcc
	v_add_co_u32_e32 v40, vcc, 0x5000, v31
	;; [unrolled: 2-line block ×3, first 2 shown]
	global_load_dwordx4 v[0:3], v[31:32], off
	global_load_dwordx4 v[4:7], v[31:32], off offset:2992
	global_load_dwordx4 v[8:11], v[16:17], off offset:1888
	;; [unrolled: 1-line block ×3, first 2 shown]
	s_nop 0
	global_load_dwordx4 v[16:19], v[24:25], off offset:3776
	global_load_dwordx4 v[20:23], v[26:27], off offset:2672
	s_nop 0
	global_load_dwordx4 v[24:27], v[33:34], off offset:1568
	global_load_dwordx4 v[28:31], v[40:41], off offset:464
	v_addc_co_u32_e32 v43, vcc, 0, v32, vcc
	global_load_dwordx4 v[32:35], v[40:41], off offset:3456
	global_load_dwordx4 v[36:39], v[42:43], off offset:2352
	v_add_u32_e32 v40, 0, v44
	s_waitcnt vmcnt(9)
	ds_write_b128 v40, v[0:3]
	s_waitcnt vmcnt(8)
	ds_write_b128 v40, v[4:7] offset:2992
	s_waitcnt vmcnt(7)
	ds_write_b128 v40, v[8:11] offset:5984
	;; [unrolled: 2-line block ×9, first 2 shown]
.LBB0_13:
	s_or_b64 exec, exec, s[4:5]
	v_lshl_add_u32 v174, v106, 4, 0
	s_waitcnt lgkmcnt(0)
	s_barrier
	ds_read_b128 v[4:7], v174 offset:28160
	ds_read_b128 v[16:19], v174 offset:1760
	ds_read_b128 v[20:23], v174
	ds_read_b128 v[8:11], v174 offset:26400
	ds_read_b128 v[32:35], v174 offset:3520
	s_mov_b32 s8, 0x4363dd80
	s_waitcnt lgkmcnt(3)
	v_add_f64 v[114:115], v[18:19], -v[6:7]
	v_add_f64 v[112:113], v[18:19], v[6:7]
	s_mov_b32 s9, 0xbfe0d888
	v_add_f64 v[110:111], v[16:17], v[4:5]
	s_waitcnt lgkmcnt(0)
	v_add_f64 v[120:121], v[34:35], -v[10:11]
	s_mov_b32 s4, 0x910ea3b9
	s_mov_b32 s5, 0xbfeb34fa
	ds_read_b128 v[28:31], v174 offset:5280
	ds_read_b128 v[12:15], v174 offset:24640
	v_mul_f64 v[72:73], v[114:115], s[8:9]
	v_add_f64 v[152:153], v[16:17], -v[4:5]
	v_mul_f64 v[78:79], v[112:113], s[4:5]
	v_add_f64 v[118:119], v[34:35], v[10:11]
	s_mov_b32 s38, 0x7c9e640b
	s_mov_b32 s39, 0x3feca52d
	v_add_f64 v[116:117], v[32:33], v[8:9]
	v_mul_f64 v[74:75], v[120:121], s[38:39]
	v_fma_f64 v[0:1], v[110:111], s[4:5], -v[72:73]
	s_waitcnt lgkmcnt(0)
	v_add_f64 v[122:123], v[30:31], -v[14:15]
	s_mov_b32 s6, 0x2b2883cd
	s_mov_b32 s7, 0x3fdc86fa
	v_fma_f64 v[2:3], v[152:153], s[8:9], v[78:79]
	v_add_f64 v[154:155], v[32:33], -v[8:9]
	v_mul_f64 v[76:77], v[118:119], s[6:7]
	ds_read_b128 v[24:27], v174 offset:22880
	ds_read_b128 v[40:43], v174 offset:7040
	s_mov_b32 s16, 0xeb564b22
	s_mov_b32 s17, 0xbfefdd0d
	v_add_f64 v[0:1], v[20:21], v[0:1]
	v_fma_f64 v[36:37], v[116:117], s[6:7], -v[74:75]
	v_add_f64 v[126:127], v[30:31], v[14:15]
	v_add_f64 v[124:125], v[28:29], v[12:13]
	v_mul_f64 v[80:81], v[122:123], s[16:17]
	s_waitcnt lgkmcnt(0)
	v_add_f64 v[136:137], v[42:43], -v[26:27]
	v_add_f64 v[2:3], v[22:23], v[2:3]
	v_fma_f64 v[38:39], v[154:155], s[38:39], v[76:77]
	s_mov_b32 s14, 0x3259b75e
	s_mov_b32 s48, 0x6c9a05f6
	;; [unrolled: 1-line block ×4, first 2 shown]
	v_add_f64 v[138:139], v[28:29], -v[12:13]
	v_mul_f64 v[82:83], v[126:127], s[14:15]
	v_add_f64 v[0:1], v[36:37], v[0:1]
	v_fma_f64 v[48:49], v[124:125], s[14:15], -v[80:81]
	v_add_f64 v[130:131], v[42:43], v[26:27]
	v_add_f64 v[128:129], v[40:41], v[24:25]
	v_mul_f64 v[84:85], v[136:137], s[48:49]
	v_add_f64 v[2:3], v[38:39], v[2:3]
	ds_read_b128 v[44:47], v174 offset:8800
	ds_read_b128 v[36:39], v174 offset:21120
	s_mov_b32 s18, 0x6ed5f1bb
	s_mov_b32 s19, 0xbfe348c8
	v_fma_f64 v[50:51], v[138:139], s[16:17], v[82:83]
	v_add_f64 v[146:147], v[40:41], -v[24:25]
	v_mul_f64 v[86:87], v[130:131], s[18:19]
	v_add_f64 v[0:1], v[48:49], v[0:1]
	s_waitcnt lgkmcnt(0)
	v_add_f64 v[140:141], v[46:47], -v[38:39]
	v_fma_f64 v[48:49], v[128:129], s[18:19], -v[84:85]
	v_add_f64 v[134:135], v[46:47], v[38:39]
	s_mov_b32 s26, 0x5d8e7cdc
	s_mov_b32 s24, 0x370991
	;; [unrolled: 1-line block ×4, first 2 shown]
	v_add_f64 v[2:3], v[50:51], v[2:3]
	v_fma_f64 v[52:53], v[146:147], s[48:49], v[86:87]
	v_add_f64 v[132:133], v[44:45], v[36:37]
	v_mul_f64 v[88:89], v[140:141], s[26:27]
	v_add_f64 v[156:157], v[44:45], -v[36:37]
	v_mul_f64 v[90:91], v[134:135], s[24:25]
	v_add_f64 v[0:1], v[48:49], v[0:1]
	ds_read_b128 v[48:51], v174 offset:19360
	ds_read_b128 v[56:59], v174 offset:10560
	s_mov_b32 s22, 0x7faef3
	v_add_f64 v[2:3], v[52:53], v[2:3]
	ds_read_b128 v[60:63], v174 offset:12320
	ds_read_b128 v[52:55], v174 offset:17600
	v_fma_f64 v[64:65], v[132:133], s[24:25], -v[88:89]
	s_waitcnt lgkmcnt(2)
	v_add_f64 v[162:163], v[58:59], -v[50:51]
	v_add_f64 v[144:145], v[58:59], v[50:51]
	v_fma_f64 v[66:67], v[156:157], s[26:27], v[90:91]
	s_mov_b32 s28, 0xacd6c6b4
	s_mov_b32 s23, 0xbfef7484
	;; [unrolled: 1-line block ×3, first 2 shown]
	v_add_f64 v[142:143], v[56:57], v[48:49]
	v_add_f64 v[166:167], v[56:57], -v[48:49]
	v_mul_f64 v[92:93], v[162:163], s[28:29]
	v_mul_f64 v[94:95], v[144:145], s[22:23]
	s_waitcnt lgkmcnt(0)
	v_add_f64 v[164:165], v[62:63], -v[54:55]
	v_add_f64 v[150:151], v[62:63], v[54:55]
	v_add_f64 v[0:1], v[64:65], v[0:1]
	;; [unrolled: 1-line block ×3, first 2 shown]
	ds_read_b128 v[68:71], v174 offset:14080
	ds_read_b128 v[64:67], v174 offset:15840
	s_mov_b32 s30, 0x75d4884
	s_mov_b32 s46, 0x2a9d6da3
	;; [unrolled: 1-line block ×4, first 2 shown]
	v_fma_f64 v[100:101], v[142:143], s[22:23], -v[92:93]
	v_fma_f64 v[102:103], v[166:167], s[28:29], v[94:95]
	v_add_f64 v[148:149], v[60:61], v[52:53]
	v_mul_f64 v[96:97], v[164:165], s[46:47]
	v_add_f64 v[168:169], v[60:61], -v[52:53]
	v_mul_f64 v[98:99], v[150:151], s[30:31]
	s_waitcnt lgkmcnt(0)
	v_add_f64 v[170:171], v[70:71], -v[66:67]
	v_add_f64 v[158:159], v[70:71], v[66:67]
	s_mov_b32 s34, 0xc61f0d01
	s_mov_b32 s36, 0x923c349f
	;; [unrolled: 1-line block ×4, first 2 shown]
	v_add_f64 v[0:1], v[100:101], v[0:1]
	v_add_f64 v[2:3], v[102:103], v[2:3]
	v_fma_f64 v[175:176], v[148:149], s[30:31], -v[96:97]
	v_fma_f64 v[177:178], v[168:169], s[46:47], v[98:99]
	v_add_f64 v[160:161], v[68:69], v[64:65]
	v_mul_f64 v[100:101], v[170:171], s[36:37]
	v_add_f64 v[172:173], v[68:69], -v[64:65]
	v_mul_f64 v[102:103], v[158:159], s[34:35]
	s_movk_i32 s20, 0x6e
	v_cmp_gt_u32_e32 vcc, s20, v106
	v_add_f64 v[0:1], v[175:176], v[0:1]
	v_add_f64 v[2:3], v[177:178], v[2:3]
	v_fma_f64 v[175:176], v[160:161], s[34:35], -v[100:101]
	s_barrier
	v_fma_f64 v[177:178], v[172:173], s[36:37], v[102:103]
	v_add_f64 v[0:1], v[175:176], v[0:1]
	v_add_f64 v[2:3], v[177:178], v[2:3]
	s_and_saveexec_b64 s[20:21], vcc
	s_cbranch_execz .LBB0_15
; %bb.14:
	v_mul_f64 v[181:182], v[152:153], s[28:29]
	v_mul_f64 v[191:192], v[114:115], s[28:29]
	s_mov_b32 s45, 0x3fd71e95
	s_mov_b32 s44, s26
	v_mul_f64 v[177:178], v[152:153], s[8:9]
	v_mul_f64 v[187:188], v[154:155], s[44:45]
	;; [unrolled: 1-line block ×4, first 2 shown]
	v_fma_f64 v[193:194], v[112:113], s[22:23], v[181:182]
	v_fma_f64 v[207:208], v[110:111], s[22:23], -v[191:192]
	v_fma_f64 v[181:182], v[112:113], s[22:23], -v[181:182]
	v_fma_f64 v[191:192], v[110:111], s[22:23], v[191:192]
	v_mul_f64 v[183:184], v[154:155], s[38:39]
	v_mul_f64 v[201:202], v[138:139], s[8:9]
	v_fma_f64 v[203:204], v[118:119], s[24:25], v[187:188]
	v_mul_f64 v[217:218], v[122:123], s[8:9]
	v_fma_f64 v[219:220], v[116:117], s[24:25], -v[205:206]
	v_fma_f64 v[187:188], v[118:119], s[24:25], -v[187:188]
	v_add_f64 v[181:182], v[22:23], v[181:182]
	v_fma_f64 v[205:206], v[116:117], s[24:25], v[205:206]
	v_add_f64 v[191:192], v[20:21], v[191:192]
	v_add_f64 v[78:79], v[78:79], -v[177:178]
	v_mul_f64 v[179:180], v[116:117], s[6:7]
	v_mul_f64 v[189:190], v[138:139], s[16:17]
	v_add_f64 v[193:194], v[22:23], v[193:194]
	v_mul_f64 v[213:214], v[146:147], s[46:47]
	v_mul_f64 v[223:224], v[136:137], s[46:47]
	v_add_f64 v[72:73], v[175:176], v[72:73]
	v_fma_f64 v[175:176], v[126:127], s[4:5], -v[201:202]
	v_add_f64 v[181:182], v[187:188], v[181:182]
	v_fma_f64 v[187:188], v[124:125], s[4:5], v[217:218]
	v_add_f64 v[191:192], v[205:206], v[191:192]
	v_add_f64 v[76:77], v[76:77], -v[183:184]
	v_add_f64 v[78:79], v[22:23], v[78:79]
	s_mov_b32 s41, 0xbfe9895b
	s_mov_b32 s40, s48
	v_mul_f64 v[185:186], v[124:125], s[14:15]
	v_mul_f64 v[197:198], v[146:147], s[48:49]
	v_fma_f64 v[215:216], v[126:127], s[4:5], v[201:202]
	v_add_f64 v[193:194], v[203:204], v[193:194]
	v_mul_f64 v[203:204], v[156:157], s[40:41]
	v_mul_f64 v[231:232], v[140:141], s[40:41]
	v_add_f64 v[74:75], v[179:180], v[74:75]
	v_add_f64 v[72:73], v[20:21], v[72:73]
	v_fma_f64 v[179:180], v[130:131], s[30:31], -v[213:214]
	v_add_f64 v[175:176], v[175:176], v[181:182]
	v_fma_f64 v[181:182], v[128:129], s[30:31], v[223:224]
	v_add_f64 v[183:184], v[187:188], v[191:192]
	v_add_f64 v[82:83], v[82:83], -v[189:190]
	v_add_f64 v[76:77], v[76:77], v[78:79]
	v_mul_f64 v[195:196], v[128:129], s[18:19]
	v_mul_f64 v[209:210], v[156:157], s[26:27]
	v_fma_f64 v[221:222], v[130:131], s[30:31], v[213:214]
	v_add_f64 v[193:194], v[215:216], v[193:194]
	v_mul_f64 v[227:228], v[166:167], s[38:39]
	v_mul_f64 v[239:240], v[162:163], s[38:39]
	v_add_f64 v[78:79], v[185:186], v[80:81]
	v_add_f64 v[72:73], v[74:75], v[72:73]
	v_fma_f64 v[74:75], v[134:135], s[18:19], -v[203:204]
	v_add_f64 v[80:81], v[179:180], v[175:176]
	v_fma_f64 v[175:176], v[132:133], s[18:19], v[231:232]
	v_add_f64 v[179:180], v[181:182], v[183:184]
	v_add_f64 v[86:87], v[86:87], -v[197:198]
	v_add_f64 v[76:77], v[82:83], v[76:77]
	v_mul_f64 v[199:200], v[132:133], s[24:25]
	v_mul_f64 v[215:216], v[166:167], s[28:29]
	v_fma_f64 v[229:230], v[134:135], s[18:19], v[203:204]
	v_add_f64 v[193:194], v[221:222], v[193:194]
	v_mul_f64 v[235:236], v[168:169], s[36:37]
	v_add_f64 v[82:83], v[195:196], v[84:85]
	v_add_f64 v[72:73], v[78:79], v[72:73]
	v_fma_f64 v[78:79], v[144:145], s[6:7], -v[227:228]
	v_add_f64 v[74:75], v[74:75], v[80:81]
	v_fma_f64 v[80:81], v[142:143], s[6:7], v[239:240]
	v_add_f64 v[84:85], v[175:176], v[179:180]
	v_add_f64 v[90:91], v[90:91], -v[209:210]
	v_add_f64 v[76:77], v[86:87], v[76:77]
	s_mov_b32 s57, 0x3fefdd0d
	s_mov_b32 s56, s16
	v_mul_f64 v[211:212], v[142:143], s[22:23]
	v_add_f64 v[207:208], v[20:21], v[207:208]
	v_mul_f64 v[221:222], v[168:169], s[46:47]
	v_add_f64 v[193:194], v[229:230], v[193:194]
	v_mul_f64 v[229:230], v[172:173], s[56:57]
	v_mul_f64 v[243:244], v[164:165], s[36:37]
	v_add_f64 v[86:87], v[199:200], v[88:89]
	v_add_f64 v[72:73], v[82:83], v[72:73]
	v_fma_f64 v[82:83], v[150:151], s[34:35], -v[235:236]
	v_add_f64 v[74:75], v[78:79], v[74:75]
	v_add_f64 v[80:81], v[80:81], v[84:85]
	v_add_f64 v[84:85], v[94:95], -v[215:216]
	v_add_f64 v[76:77], v[90:91], v[76:77]
	v_fma_f64 v[225:226], v[124:125], s[4:5], -v[217:218]
	v_add_f64 v[207:208], v[219:220], v[207:208]
	v_fma_f64 v[78:79], v[148:149], s[34:35], v[243:244]
	v_add_f64 v[88:89], v[211:212], v[92:93]
	v_add_f64 v[72:73], v[86:87], v[72:73]
	v_fma_f64 v[86:87], v[158:159], s[14:15], -v[229:230]
	v_add_f64 v[82:83], v[82:83], v[74:75]
	v_add_f64 v[92:93], v[98:99], -v[221:222]
	v_add_f64 v[84:85], v[84:85], v[76:77]
	v_fma_f64 v[233:234], v[128:129], s[30:31], -v[223:224]
	v_add_f64 v[207:208], v[225:226], v[207:208]
	v_mul_f64 v[225:226], v[160:161], s[34:35]
	v_fma_f64 v[237:238], v[144:145], s[6:7], v[227:228]
	v_add_f64 v[80:81], v[78:79], v[80:81]
	v_add_f64 v[78:79], v[86:87], v[82:83]
	v_mul_f64 v[98:99], v[114:115], s[40:41]
	v_add_f64 v[82:83], v[92:93], v[84:85]
	v_mul_f64 v[92:93], v[152:153], s[40:41]
	s_mov_b32 s53, 0x3feec746
	s_mov_b32 s52, s36
	v_fma_f64 v[241:242], v[132:133], s[18:19], -v[231:232]
	v_add_f64 v[207:208], v[233:234], v[207:208]
	v_fma_f64 v[233:234], v[150:151], s[34:35], v[235:236]
	v_add_f64 v[193:194], v[237:238], v[193:194]
	v_add_f64 v[84:85], v[225:226], v[100:101]
	v_mul_f64 v[100:101], v[154:155], s[52:53]
	v_fma_f64 v[175:176], v[112:113], s[18:19], v[92:93]
	v_mul_f64 v[179:180], v[120:121], s[52:53]
	v_fma_f64 v[181:182], v[110:111], s[18:19], -v[98:99]
	v_fma_f64 v[92:93], v[112:113], s[18:19], -v[92:93]
	v_add_f64 v[207:208], v[241:242], v[207:208]
	v_fma_f64 v[241:242], v[158:159], s[14:15], v[229:230]
	v_add_f64 v[193:194], v[233:234], v[193:194]
	v_mul_f64 v[185:186], v[138:139], s[26:27]
	v_fma_f64 v[187:188], v[118:119], s[34:35], v[100:101]
	v_add_f64 v[175:176], v[22:23], v[175:176]
	v_mul_f64 v[189:190], v[122:123], s[26:27]
	v_fma_f64 v[191:192], v[116:117], s[34:35], -v[179:180]
	v_add_f64 v[181:182], v[20:21], v[181:182]
	v_fma_f64 v[100:101], v[118:119], s[34:35], -v[100:101]
	v_add_f64 v[92:93], v[22:23], v[92:93]
	v_mul_f64 v[219:220], v[148:149], s[30:31]
	v_fma_f64 v[245:246], v[142:143], s[6:7], -v[239:240]
	v_add_f64 v[74:75], v[241:242], v[193:194]
	v_mul_f64 v[193:194], v[146:147], s[8:9]
	v_fma_f64 v[195:196], v[126:127], s[24:25], v[185:186]
	v_add_f64 v[175:176], v[187:188], v[175:176]
	v_mul_f64 v[187:188], v[136:137], s[8:9]
	v_fma_f64 v[197:198], v[124:125], s[24:25], -v[189:190]
	v_add_f64 v[181:182], v[191:192], v[181:182]
	v_fma_f64 v[185:186], v[126:127], s[24:25], -v[185:186]
	v_fma_f64 v[98:99], v[110:111], s[18:19], v[98:99]
	v_add_f64 v[92:93], v[100:101], v[92:93]
	v_mul_f64 v[247:248], v[170:171], s[56:57]
	v_fma_f64 v[249:250], v[148:149], s[34:35], -v[243:244]
	v_add_f64 v[207:208], v[245:246], v[207:208]
	v_add_f64 v[94:95], v[219:220], v[96:97]
	;; [unrolled: 1-line block ×3, first 2 shown]
	v_mul_f64 v[96:97], v[156:157], s[56:57]
	v_fma_f64 v[191:192], v[130:131], s[4:5], v[193:194]
	v_add_f64 v[100:101], v[195:196], v[175:176]
	v_mul_f64 v[175:176], v[140:141], s[56:57]
	v_fma_f64 v[195:196], v[128:129], s[4:5], -v[187:188]
	v_add_f64 v[181:182], v[197:198], v[181:182]
	v_fma_f64 v[193:194], v[130:131], s[4:5], -v[193:194]
	v_fma_f64 v[179:180], v[116:117], s[34:35], v[179:180]
	v_add_f64 v[98:99], v[20:21], v[98:99]
	v_add_f64 v[92:93], v[185:186], v[92:93]
	s_mov_b32 s43, 0xbfe58eea
	s_mov_b32 s42, s46
	v_fma_f64 v[233:234], v[160:161], s[14:15], -v[247:248]
	v_add_f64 v[177:178], v[249:250], v[207:208]
	v_fma_f64 v[90:91], v[160:161], s[14:15], v[247:248]
	v_add_f64 v[88:89], v[94:95], v[88:89]
	v_mul_f64 v[94:95], v[166:167], s[42:43]
	v_fma_f64 v[183:184], v[134:135], s[14:15], v[96:97]
	v_add_f64 v[100:101], v[191:192], v[100:101]
	v_mul_f64 v[185:186], v[162:163], s[42:43]
	v_fma_f64 v[191:192], v[132:133], s[14:15], -v[175:176]
	v_add_f64 v[181:182], v[195:196], v[181:182]
	v_fma_f64 v[96:97], v[134:135], s[14:15], -v[96:97]
	v_fma_f64 v[189:190], v[124:125], s[24:25], v[189:190]
	v_add_f64 v[98:99], v[179:180], v[98:99]
	v_add_f64 v[92:93], v[193:194], v[92:93]
	v_mul_f64 v[237:238], v[172:173], s[36:37]
	v_add_f64 v[72:73], v[233:234], v[177:178]
	v_add_f64 v[76:77], v[90:91], v[80:81]
	v_mul_f64 v[90:91], v[168:169], s[28:29]
	v_fma_f64 v[177:178], v[144:145], s[30:31], v[94:95]
	v_add_f64 v[100:101], v[183:184], v[100:101]
	v_mul_f64 v[179:180], v[164:165], s[28:29]
	v_fma_f64 v[183:184], v[142:143], s[30:31], -v[185:186]
	v_add_f64 v[181:182], v[191:192], v[181:182]
	v_fma_f64 v[94:95], v[144:145], s[30:31], -v[94:95]
	v_fma_f64 v[187:188], v[128:129], s[4:5], v[187:188]
	v_add_f64 v[98:99], v[189:190], v[98:99]
	v_add_f64 v[92:93], v[96:97], v[92:93]
	v_add_f64 v[80:81], v[102:103], -v[237:238]
	v_mul_f64 v[86:87], v[172:173], s[38:39]
	v_fma_f64 v[102:103], v[150:151], s[22:23], v[90:91]
	v_add_f64 v[96:97], v[177:178], v[100:101]
	v_mul_f64 v[100:101], v[170:171], s[38:39]
	v_fma_f64 v[177:178], v[148:149], s[22:23], -v[179:180]
	v_add_f64 v[181:182], v[183:184], v[181:182]
	v_fma_f64 v[90:91], v[150:151], s[22:23], -v[90:91]
	v_fma_f64 v[175:176], v[132:133], s[14:15], v[175:176]
	v_add_f64 v[98:99], v[187:188], v[98:99]
	v_add_f64 v[92:93], v[94:95], v[92:93]
	v_fma_f64 v[94:95], v[158:159], s[6:7], v[86:87]
	v_add_f64 v[96:97], v[102:103], v[96:97]
	v_fma_f64 v[102:103], v[160:161], s[6:7], -v[100:101]
	v_add_f64 v[177:178], v[177:178], v[181:182]
	v_fma_f64 v[183:184], v[142:143], s[30:31], v[185:186]
	s_mov_b32 s55, 0x3fe0d888
	v_add_f64 v[98:99], v[175:176], v[98:99]
	v_add_f64 v[90:91], v[90:91], v[92:93]
	v_mul_f64 v[92:93], v[152:153], s[36:37]
	s_mov_b32 s54, s8
	v_fma_f64 v[181:182], v[158:159], s[6:7], -v[86:87]
	v_add_f64 v[86:87], v[80:81], v[82:83]
	v_add_f64 v[84:85], v[84:85], v[88:89]
	;; [unrolled: 1-line block ×4, first 2 shown]
	v_fma_f64 v[88:89], v[148:149], s[22:23], v[179:180]
	v_add_f64 v[94:95], v[183:184], v[98:99]
	v_mul_f64 v[96:97], v[154:155], s[54:55]
	v_fma_f64 v[98:99], v[160:161], s[6:7], v[100:101]
	v_mul_f64 v[100:101], v[114:115], s[36:37]
	v_fma_f64 v[102:103], v[112:113], s[34:35], v[92:93]
	v_add_f64 v[90:91], v[181:182], v[90:91]
	v_mul_f64 v[181:182], v[120:121], s[54:55]
	s_mov_b32 s51, 0xbfeca52d
	v_add_f64 v[88:89], v[88:89], v[94:95]
	v_mul_f64 v[94:95], v[138:139], s[46:47]
	v_fma_f64 v[179:180], v[118:119], s[4:5], v[96:97]
	v_fma_f64 v[183:184], v[110:111], s[34:35], -v[100:101]
	v_add_f64 v[102:103], v[22:23], v[102:103]
	s_mov_b32 s50, s38
	v_mul_f64 v[185:186], v[146:147], s[50:51]
	v_mul_f64 v[189:190], v[122:123], s[46:47]
	v_fma_f64 v[191:192], v[116:117], s[4:5], -v[181:182]
	v_fma_f64 v[187:188], v[126:127], s[30:31], v[94:95]
	v_mul_f64 v[193:194], v[156:157], s[28:29]
	v_add_f64 v[183:184], v[20:21], v[183:184]
	v_add_f64 v[102:103], v[179:180], v[102:103]
	v_mul_f64 v[197:198], v[136:137], s[50:51]
	v_fma_f64 v[195:196], v[130:131], s[6:7], v[185:186]
	v_fma_f64 v[199:200], v[124:125], s[30:31], -v[189:190]
	v_fma_f64 v[92:93], v[112:113], s[34:35], -v[92:93]
	v_mul_f64 v[201:202], v[140:141], s[28:29]
	v_fma_f64 v[96:97], v[118:119], s[4:5], -v[96:97]
	v_add_f64 v[183:184], v[191:192], v[183:184]
	v_add_f64 v[102:103], v[187:188], v[102:103]
	v_mul_f64 v[187:188], v[166:167], s[56:57]
	v_fma_f64 v[191:192], v[134:135], s[22:23], v[193:194]
	v_fma_f64 v[203:204], v[128:129], s[6:7], -v[197:198]
	v_add_f64 v[92:93], v[22:23], v[92:93]
	v_mul_f64 v[177:178], v[168:169], s[26:27]
	v_fma_f64 v[205:206], v[132:133], s[22:23], -v[201:202]
	v_add_f64 v[183:184], v[199:200], v[183:184]
	v_add_f64 v[102:103], v[195:196], v[102:103]
	v_fma_f64 v[195:196], v[144:145], s[14:15], v[187:188]
	v_mul_f64 v[199:200], v[162:163], s[56:57]
	v_fma_f64 v[94:95], v[126:127], s[30:31], -v[94:95]
	v_fma_f64 v[100:101], v[110:111], s[34:35], v[100:101]
	v_add_f64 v[92:93], v[96:97], v[92:93]
	v_mul_f64 v[175:176], v[172:173], s[40:41]
	v_add_f64 v[96:97], v[203:204], v[183:184]
	v_add_f64 v[102:103], v[191:192], v[102:103]
	v_fma_f64 v[179:180], v[150:151], s[24:25], v[177:178]
	v_mul_f64 v[183:184], v[164:165], s[26:27]
	v_fma_f64 v[191:192], v[142:143], s[14:15], -v[199:200]
	v_fma_f64 v[185:186], v[130:131], s[6:7], -v[185:186]
	v_fma_f64 v[181:182], v[116:117], s[4:5], v[181:182]
	v_add_f64 v[100:101], v[20:21], v[100:101]
	v_add_f64 v[92:93], v[94:95], v[92:93]
	;; [unrolled: 1-line block ×4, first 2 shown]
	v_mul_f64 v[102:103], v[170:171], s[40:41]
	v_fma_f64 v[195:196], v[148:149], s[24:25], -v[183:184]
	v_fma_f64 v[193:194], v[134:135], s[22:23], -v[193:194]
	v_fma_f64 v[189:190], v[124:125], s[30:31], v[189:190]
	v_add_f64 v[100:101], v[181:182], v[100:101]
	v_add_f64 v[92:93], v[185:186], v[92:93]
	v_add_f64 v[94:95], v[191:192], v[94:95]
	v_fma_f64 v[181:182], v[158:159], s[18:19], v[175:176]
	v_add_f64 v[96:97], v[179:180], v[96:97]
	v_fma_f64 v[179:180], v[160:161], s[18:19], -v[102:103]
	v_fma_f64 v[185:186], v[144:145], s[14:15], -v[187:188]
	v_fma_f64 v[187:188], v[128:129], s[6:7], v[197:198]
	v_add_f64 v[100:101], v[189:190], v[100:101]
	v_add_f64 v[92:93], v[193:194], v[92:93]
	;; [unrolled: 1-line block ×5, first 2 shown]
	v_fma_f64 v[96:97], v[150:151], s[24:25], -v[177:178]
	v_mul_f64 v[177:178], v[152:153], s[16:17]
	v_fma_f64 v[98:99], v[132:133], s[22:23], v[201:202]
	v_add_f64 v[100:101], v[187:188], v[100:101]
	v_add_f64 v[181:182], v[185:186], v[92:93]
	;; [unrolled: 1-line block ×3, first 2 shown]
	v_mul_f64 v[185:186], v[114:115], s[16:17]
	v_mul_f64 v[187:188], v[154:155], s[28:29]
	v_fma_f64 v[179:180], v[142:143], s[14:15], v[199:200]
	v_fma_f64 v[189:190], v[112:113], s[14:15], v[177:178]
	v_mul_f64 v[195:196], v[122:123], s[52:53]
	v_add_f64 v[98:99], v[98:99], v[100:101]
	v_add_f64 v[96:97], v[96:97], v[181:182]
	v_fma_f64 v[100:101], v[148:149], s[24:25], v[183:184]
	v_mul_f64 v[181:182], v[138:139], s[52:53]
	v_mul_f64 v[183:184], v[120:121], s[28:29]
	v_fma_f64 v[191:192], v[110:111], s[14:15], -v[185:186]
	v_fma_f64 v[193:194], v[118:119], s[22:23], v[187:188]
	v_add_f64 v[189:190], v[22:23], v[189:190]
	v_add_f64 v[98:99], v[179:180], v[98:99]
	v_fma_f64 v[179:180], v[160:161], s[18:19], v[102:103]
	v_mul_f64 v[102:103], v[146:147], s[44:45]
	v_fma_f64 v[199:200], v[126:127], s[34:35], v[181:182]
	v_fma_f64 v[197:198], v[116:117], s[22:23], -v[183:184]
	v_add_f64 v[191:192], v[20:21], v[191:192]
	v_fma_f64 v[177:178], v[112:113], s[14:15], -v[177:178]
	v_add_f64 v[189:190], v[193:194], v[189:190]
	v_add_f64 v[98:99], v[100:101], v[98:99]
	v_mul_f64 v[100:101], v[156:157], s[50:51]
	v_mul_f64 v[193:194], v[136:137], s[44:45]
	v_fma_f64 v[201:202], v[124:125], s[34:35], -v[195:196]
	v_fma_f64 v[187:188], v[118:119], s[22:23], -v[187:188]
	v_add_f64 v[191:192], v[197:198], v[191:192]
	v_fma_f64 v[197:198], v[130:131], s[24:25], v[102:103]
	v_add_f64 v[189:190], v[199:200], v[189:190]
	v_add_f64 v[177:178], v[22:23], v[177:178]
	v_mul_f64 v[199:200], v[166:167], s[8:9]
	v_mul_f64 v[203:204], v[140:141], s[50:51]
	v_fma_f64 v[205:206], v[128:129], s[24:25], -v[193:194]
	v_fma_f64 v[181:182], v[126:127], s[34:35], -v[181:182]
	v_add_f64 v[191:192], v[201:202], v[191:192]
	v_fma_f64 v[201:202], v[134:135], s[6:7], v[100:101]
	;; [unrolled: 8-line block ×3, first 2 shown]
	v_add_f64 v[189:190], v[201:202], v[189:190]
	v_add_f64 v[177:178], v[181:182], v[177:178]
	v_mul_f64 v[201:202], v[172:173], s[46:47]
	v_mul_f64 v[181:182], v[164:165], s[48:49]
	v_fma_f64 v[209:210], v[142:143], s[4:5], -v[187:188]
	v_fma_f64 v[185:186], v[110:111], s[14:15], v[185:186]
	v_add_f64 v[191:192], v[207:208], v[191:192]
	v_fma_f64 v[207:208], v[150:151], s[18:19], v[197:198]
	v_add_f64 v[189:190], v[205:206], v[189:190]
	v_fma_f64 v[100:101], v[134:135], s[6:7], -v[100:101]
	v_add_f64 v[102:103], v[102:103], v[177:178]
	v_fma_f64 v[175:176], v[158:159], s[18:19], -v[175:176]
	v_mul_f64 v[177:178], v[170:171], s[46:47]
	v_fma_f64 v[205:206], v[148:149], s[18:19], -v[181:182]
	v_add_f64 v[191:192], v[209:210], v[191:192]
	v_fma_f64 v[209:210], v[158:159], s[30:31], v[201:202]
	v_fma_f64 v[183:184], v[116:117], s[22:23], v[183:184]
	v_add_f64 v[185:186], v[20:21], v[185:186]
	v_fma_f64 v[199:200], v[144:145], s[4:5], -v[199:200]
	v_add_f64 v[100:101], v[100:101], v[102:103]
	v_add_f64 v[189:190], v[207:208], v[189:190]
	v_fma_f64 v[207:208], v[160:161], s[30:31], -v[177:178]
	v_add_f64 v[191:192], v[205:206], v[191:192]
	v_add_f64 v[102:103], v[175:176], v[96:97]
	v_fma_f64 v[175:176], v[124:125], s[34:35], v[195:196]
	v_add_f64 v[183:184], v[183:184], v[185:186]
	v_fma_f64 v[185:186], v[150:151], s[18:19], -v[197:198]
	v_add_f64 v[195:196], v[199:200], v[100:101]
	v_add_f64 v[100:101], v[179:180], v[98:99]
	;; [unrolled: 1-line block ×3, first 2 shown]
	v_mul_f64 v[189:190], v[152:153], s[50:51]
	v_add_f64 v[96:97], v[207:208], v[191:192]
	v_fma_f64 v[179:180], v[128:129], s[24:25], v[193:194]
	v_add_f64 v[175:176], v[175:176], v[183:184]
	v_mul_f64 v[191:192], v[114:115], s[50:51]
	v_add_f64 v[185:186], v[185:186], v[195:196]
	v_mul_f64 v[195:196], v[154:155], s[40:41]
	s_mov_b32 s49, 0x3fc7851a
	v_fma_f64 v[197:198], v[112:113], s[6:7], v[189:190]
	s_mov_b32 s48, s28
	v_fma_f64 v[183:184], v[158:159], s[30:31], -v[201:202]
	v_fma_f64 v[193:194], v[132:133], s[6:7], v[203:204]
	v_add_f64 v[175:176], v[179:180], v[175:176]
	v_mul_f64 v[199:200], v[120:121], s[40:41]
	v_fma_f64 v[179:180], v[110:111], s[6:7], -v[191:192]
	v_mul_f64 v[201:202], v[138:139], s[48:49]
	v_fma_f64 v[203:204], v[118:119], s[18:19], v[195:196]
	v_add_f64 v[197:198], v[22:23], v[197:198]
	v_fma_f64 v[187:188], v[142:143], s[4:5], v[187:188]
	v_mul_f64 v[207:208], v[146:147], s[52:53]
	v_add_f64 v[175:176], v[193:194], v[175:176]
	v_mul_f64 v[193:194], v[122:123], s[48:49]
	v_fma_f64 v[205:206], v[116:117], s[18:19], -v[199:200]
	v_add_f64 v[179:180], v[20:21], v[179:180]
	v_fma_f64 v[209:210], v[126:127], s[22:23], v[201:202]
	v_add_f64 v[197:198], v[203:204], v[197:198]
	v_fma_f64 v[189:190], v[112:113], s[6:7], -v[189:190]
	v_fma_f64 v[211:212], v[130:131], s[34:35], v[207:208]
	v_add_f64 v[175:176], v[187:188], v[175:176]
	v_mul_f64 v[187:188], v[136:137], s[52:53]
	v_fma_f64 v[203:204], v[124:125], s[22:23], -v[193:194]
	v_add_f64 v[179:180], v[205:206], v[179:180]
	v_mul_f64 v[205:206], v[156:157], s[46:47]
	v_add_f64 v[197:198], v[209:210], v[197:198]
	v_fma_f64 v[195:196], v[118:119], s[18:19], -v[195:196]
	v_add_f64 v[189:190], v[22:23], v[189:190]
	v_mul_f64 v[209:210], v[140:141], s[46:47]
	v_fma_f64 v[213:214], v[128:129], s[34:35], -v[187:188]
	v_fma_f64 v[201:202], v[126:127], s[22:23], -v[201:202]
	v_add_f64 v[179:180], v[203:204], v[179:180]
	v_mul_f64 v[203:204], v[166:167], s[26:27]
	v_fma_f64 v[215:216], v[134:135], s[30:31], v[205:206]
	v_add_f64 v[197:198], v[211:212], v[197:198]
	v_add_f64 v[189:190], v[195:196], v[189:190]
	v_fma_f64 v[217:218], v[132:133], s[30:31], -v[209:210]
	v_mul_f64 v[195:196], v[168:169], s[16:17]
	v_fma_f64 v[207:208], v[130:131], s[34:35], -v[207:208]
	v_add_f64 v[179:180], v[213:214], v[179:180]
	v_fma_f64 v[213:214], v[144:145], s[24:25], v[203:204]
	v_add_f64 v[18:19], v[22:23], v[18:19]
	v_add_f64 v[197:198], v[215:216], v[197:198]
	;; [unrolled: 1-line block ×4, first 2 shown]
	v_fma_f64 v[181:182], v[148:149], s[18:19], v[181:182]
	v_mul_f64 v[211:212], v[162:163], s[26:27]
	v_add_f64 v[179:180], v[217:218], v[179:180]
	v_mul_f64 v[201:202], v[172:173], s[8:9]
	v_fma_f64 v[217:218], v[150:151], s[14:15], v[195:196]
	v_add_f64 v[197:198], v[213:214], v[197:198]
	v_fma_f64 v[205:206], v[134:135], s[30:31], -v[205:206]
	v_add_f64 v[189:190], v[207:208], v[189:190]
	v_add_f64 v[18:19], v[18:19], v[34:35]
	v_add_f64 v[16:17], v[16:17], v[32:33]
	v_mul_f64 v[215:216], v[164:165], s[16:17]
	v_fma_f64 v[219:220], v[142:143], s[24:25], -v[211:212]
	v_fma_f64 v[207:208], v[160:161], s[30:31], v[177:178]
	v_add_f64 v[175:176], v[181:182], v[175:176]
	v_fma_f64 v[181:182], v[158:159], s[4:5], v[201:202]
	v_add_f64 v[197:198], v[217:218], v[197:198]
	v_fma_f64 v[203:204], v[144:145], s[24:25], -v[203:204]
	v_add_f64 v[189:190], v[205:206], v[189:190]
	v_add_f64 v[177:178], v[183:184], v[185:186]
	v_fma_f64 v[183:184], v[110:111], s[6:7], v[191:192]
	v_add_f64 v[18:19], v[18:19], v[30:31]
	v_add_f64 v[16:17], v[16:17], v[28:29]
	v_mul_f64 v[213:214], v[170:171], s[8:9]
	v_fma_f64 v[221:222], v[148:149], s[14:15], -v[215:216]
	v_add_f64 v[179:180], v[219:220], v[179:180]
	v_add_f64 v[181:182], v[181:182], v[197:198]
	v_fma_f64 v[185:186], v[150:151], s[14:15], -v[195:196]
	v_mul_f64 v[191:192], v[152:153], s[42:43]
	v_add_f64 v[189:190], v[203:204], v[189:190]
	v_fma_f64 v[195:196], v[116:117], s[18:19], v[199:200]
	v_mul_f64 v[197:198], v[114:115], s[42:43]
	v_add_f64 v[183:184], v[20:21], v[183:184]
	v_add_f64 v[18:19], v[18:19], v[42:43]
	;; [unrolled: 1-line block ×3, first 2 shown]
	v_fma_f64 v[217:218], v[160:161], s[4:5], -v[213:214]
	v_add_f64 v[179:180], v[221:222], v[179:180]
	v_fma_f64 v[199:200], v[158:159], s[4:5], -v[201:202]
	v_mul_f64 v[201:202], v[154:155], s[16:17]
	v_fma_f64 v[203:204], v[112:113], s[30:31], v[191:192]
	v_add_f64 v[185:186], v[185:186], v[189:190]
	v_fma_f64 v[189:190], v[124:125], s[22:23], v[193:194]
	v_mul_f64 v[193:194], v[120:121], s[16:17]
	v_fma_f64 v[205:206], v[110:111], s[30:31], -v[197:198]
	v_add_f64 v[183:184], v[195:196], v[183:184]
	v_add_f64 v[18:19], v[18:19], v[46:47]
	;; [unrolled: 1-line block ×5, first 2 shown]
	v_fma_f64 v[207:208], v[118:119], s[14:15], v[201:202]
	v_add_f64 v[203:204], v[22:23], v[203:204]
	v_fma_f64 v[187:188], v[128:129], s[34:35], v[187:188]
	v_mul_f64 v[217:218], v[122:123], s[40:41]
	v_fma_f64 v[219:220], v[116:117], s[14:15], -v[193:194]
	v_add_f64 v[205:206], v[20:21], v[205:206]
	v_add_f64 v[183:184], v[189:190], v[183:184]
	v_fma_f64 v[191:192], v[112:113], s[30:31], -v[191:192]
	v_add_f64 v[18:19], v[18:19], v[58:59]
	v_add_f64 v[44:45], v[44:45], v[56:57]
	v_mul_f64 v[195:196], v[138:139], s[40:41]
	v_add_f64 v[203:204], v[207:208], v[203:204]
	v_fma_f64 v[207:208], v[132:133], s[30:31], v[209:210]
	v_mul_f64 v[209:210], v[136:137], s[28:29]
	v_fma_f64 v[223:224], v[124:125], s[18:19], -v[217:218]
	v_add_f64 v[205:206], v[219:220], v[205:206]
	v_add_f64 v[183:184], v[187:188], v[183:184]
	v_fma_f64 v[201:202], v[118:119], s[14:15], -v[201:202]
	v_add_f64 v[191:192], v[22:23], v[191:192]
	v_fma_f64 v[197:198], v[110:111], s[30:31], v[197:198]
	v_add_f64 v[18:19], v[18:19], v[62:63]
	v_add_f64 v[44:45], v[44:45], v[60:61]
	v_mul_f64 v[189:190], v[146:147], s[28:29]
	v_fma_f64 v[221:222], v[126:127], s[18:19], v[195:196]
	v_fma_f64 v[225:226], v[128:129], s[22:23], -v[209:210]
	v_add_f64 v[205:206], v[223:224], v[205:206]
	v_add_f64 v[183:184], v[207:208], v[183:184]
	v_mul_f64 v[207:208], v[166:167], s[52:53]
	v_fma_f64 v[195:196], v[126:127], s[18:19], -v[195:196]
	v_mul_f64 v[152:153], v[152:153], s[26:27]
	v_add_f64 v[191:192], v[201:202], v[191:192]
	v_fma_f64 v[193:194], v[116:117], s[14:15], v[193:194]
	v_add_f64 v[197:198], v[20:21], v[197:198]
	v_mul_f64 v[60:61], v[114:115], s[26:27]
	v_add_f64 v[18:19], v[18:19], v[70:71]
	v_add_f64 v[44:45], v[44:45], v[68:69]
	v_mul_f64 v[187:188], v[156:157], s[54:55]
	v_fma_f64 v[219:220], v[130:131], s[22:23], v[189:190]
	v_add_f64 v[205:206], v[225:226], v[205:206]
	v_fma_f64 v[225:226], v[144:145], s[34:35], v[207:208]
	v_fma_f64 v[201:202], v[144:145], s[34:35], -v[207:208]
	v_fma_f64 v[189:190], v[130:131], s[22:23], -v[189:190]
	v_mul_f64 v[154:155], v[154:155], s[42:43]
	v_fma_f64 v[207:208], v[112:113], s[24:25], v[152:153]
	v_add_f64 v[191:192], v[195:196], v[191:192]
	v_fma_f64 v[195:196], v[124:125], s[18:19], v[217:218]
	v_add_f64 v[193:194], v[193:194], v[197:198]
	v_fma_f64 v[112:113], v[112:113], s[24:25], -v[152:153]
	v_mul_f64 v[120:121], v[120:121], s[42:43]
	v_fma_f64 v[68:69], v[110:111], s[24:25], v[60:61]
	v_fma_f64 v[60:61], v[110:111], s[24:25], -v[60:61]
	v_add_f64 v[18:19], v[18:19], v[66:67]
	v_add_f64 v[44:45], v[44:45], v[64:65]
	;; [unrolled: 1-line block ×3, first 2 shown]
	v_fma_f64 v[211:212], v[142:143], s[24:25], v[211:212]
	v_mul_f64 v[221:222], v[140:141], s[54:55]
	v_fma_f64 v[223:224], v[134:135], s[4:5], v[187:188]
	v_fma_f64 v[187:188], v[134:135], s[4:5], -v[187:188]
	v_mul_f64 v[138:139], v[138:139], s[50:51]
	v_fma_f64 v[197:198], v[118:119], s[30:31], v[154:155]
	v_add_f64 v[207:208], v[22:23], v[207:208]
	v_add_f64 v[189:190], v[189:190], v[191:192]
	v_fma_f64 v[191:192], v[128:129], s[22:23], v[209:210]
	v_add_f64 v[32:33], v[195:196], v[193:194]
	v_mul_f64 v[70:71], v[122:123], s[50:51]
	v_fma_f64 v[110:111], v[118:119], s[30:31], -v[154:155]
	v_add_f64 v[22:23], v[22:23], v[112:113]
	v_fma_f64 v[112:113], v[116:117], s[30:31], v[120:121]
	v_add_f64 v[64:65], v[20:21], v[68:69]
	v_fma_f64 v[66:67], v[116:117], s[30:31], -v[120:121]
	v_add_f64 v[20:21], v[20:21], v[60:61]
	v_add_f64 v[18:19], v[18:19], v[54:55]
	;; [unrolled: 1-line block ×4, first 2 shown]
	v_mul_f64 v[219:220], v[162:163], s[52:53]
	v_fma_f64 v[227:228], v[132:133], s[4:5], -v[221:222]
	v_add_f64 v[183:184], v[211:212], v[183:184]
	v_mul_f64 v[211:212], v[168:169], s[38:39]
	v_mul_f64 v[34:35], v[146:147], s[16:17]
	v_fma_f64 v[146:147], v[126:127], s[6:7], v[138:139]
	v_add_f64 v[193:194], v[197:198], v[207:208]
	v_add_f64 v[187:188], v[187:188], v[189:190]
	v_fma_f64 v[189:190], v[132:133], s[4:5], v[221:222]
	v_add_f64 v[28:29], v[191:192], v[32:33]
	v_mul_f64 v[136:137], v[136:137], s[16:17]
	v_fma_f64 v[60:61], v[126:127], s[6:7], -v[138:139]
	v_add_f64 v[22:23], v[110:111], v[22:23]
	v_fma_f64 v[68:69], v[124:125], s[6:7], v[70:71]
	v_add_f64 v[52:53], v[112:113], v[64:65]
	v_fma_f64 v[54:55], v[124:125], s[6:7], -v[70:71]
	v_add_f64 v[20:21], v[66:67], v[20:21]
	v_add_f64 v[18:19], v[18:19], v[50:51]
	;; [unrolled: 1-line block ×3, first 2 shown]
	v_fma_f64 v[215:216], v[148:149], s[14:15], v[215:216]
	v_add_f64 v[203:204], v[223:224], v[203:204]
	v_mul_f64 v[223:224], v[164:165], s[38:39]
	v_add_f64 v[205:206], v[227:228], v[205:206]
	v_fma_f64 v[227:228], v[150:151], s[6:7], v[211:212]
	v_fma_f64 v[211:212], v[150:151], s[6:7], -v[211:212]
	v_mul_f64 v[30:31], v[156:157], s[36:37]
	v_fma_f64 v[32:33], v[130:131], s[14:15], v[34:35]
	v_add_f64 v[146:147], v[146:147], v[193:194]
	v_add_f64 v[156:157], v[201:202], v[187:188]
	v_fma_f64 v[187:188], v[142:143], s[34:35], v[219:220]
	v_add_f64 v[28:29], v[189:190], v[28:29]
	v_mul_f64 v[114:115], v[140:141], s[36:37]
	v_fma_f64 v[34:35], v[130:131], s[14:15], -v[34:35]
	v_add_f64 v[22:23], v[60:61], v[22:23]
	v_fma_f64 v[60:61], v[128:129], s[14:15], v[136:137]
	v_add_f64 v[48:49], v[68:69], v[52:53]
	v_fma_f64 v[50:51], v[128:129], s[14:15], -v[136:137]
	v_add_f64 v[20:21], v[54:55], v[20:21]
	v_add_f64 v[18:19], v[18:19], v[38:39]
	;; [unrolled: 1-line block ×4, first 2 shown]
	v_mul_f64 v[215:216], v[172:173], s[44:45]
	v_mul_f64 v[40:41], v[166:167], s[40:41]
	v_fma_f64 v[42:43], v[134:135], s[34:35], v[30:31]
	v_add_f64 v[32:33], v[32:33], v[146:147]
	v_add_f64 v[146:147], v[211:212], v[156:157]
	v_fma_f64 v[156:157], v[148:149], s[6:7], v[223:224]
	v_add_f64 v[28:29], v[187:188], v[28:29]
	v_mul_f64 v[62:63], v[162:163], s[40:41]
	v_fma_f64 v[30:31], v[134:135], s[34:35], -v[30:31]
	v_add_f64 v[22:23], v[34:35], v[22:23]
	v_fma_f64 v[34:35], v[132:133], s[34:35], v[114:115]
	v_add_f64 v[38:39], v[60:61], v[48:49]
	v_fma_f64 v[44:45], v[132:133], s[34:35], -v[114:115]
	v_add_f64 v[20:21], v[50:51], v[20:21]
	v_add_f64 v[18:19], v[18:19], v[26:27]
	;; [unrolled: 1-line block ×4, first 2 shown]
	v_fma_f64 v[199:200], v[158:159], s[24:25], v[215:216]
	v_fma_f64 v[215:216], v[158:159], s[24:25], -v[215:216]
	v_mul_f64 v[46:47], v[168:169], s[8:9]
	v_fma_f64 v[166:167], v[144:145], s[18:19], v[40:41]
	v_add_f64 v[28:29], v[156:157], v[28:29]
	v_mul_f64 v[156:157], v[164:165], s[8:9]
	v_fma_f64 v[40:41], v[144:145], s[18:19], -v[40:41]
	v_add_f64 v[22:23], v[30:31], v[22:23]
	v_fma_f64 v[30:31], v[142:143], s[18:19], v[62:63]
	v_add_f64 v[26:27], v[34:35], v[38:39]
	v_fma_f64 v[229:230], v[142:143], s[34:35], -v[219:220]
	v_add_f64 v[32:33], v[42:43], v[32:33]
	v_fma_f64 v[34:35], v[142:143], s[18:19], -v[62:63]
	v_add_f64 v[20:21], v[44:45], v[20:21]
	v_add_f64 v[14:15], v[18:19], v[14:15]
	;; [unrolled: 1-line block ×4, first 2 shown]
	v_mul_f64 v[56:57], v[172:173], s[28:29]
	v_mul_f64 v[146:147], v[170:171], s[28:29]
	v_fma_f64 v[36:37], v[150:151], s[4:5], -v[46:47]
	v_add_f64 v[22:23], v[40:41], v[22:23]
	v_fma_f64 v[38:39], v[148:149], s[4:5], v[156:157]
	v_add_f64 v[18:19], v[30:31], v[26:27]
	v_add_f64 v[203:204], v[225:226], v[203:204]
	v_mul_f64 v[225:226], v[170:171], s[44:45]
	v_fma_f64 v[213:214], v[160:161], s[4:5], v[213:214]
	v_fma_f64 v[231:232], v[148:149], s[6:7], -v[223:224]
	v_add_f64 v[205:206], v[229:230], v[205:206]
	v_fma_f64 v[58:59], v[150:151], s[4:5], v[46:47]
	v_add_f64 v[32:33], v[166:167], v[32:33]
	v_fma_f64 v[24:25], v[148:149], s[4:5], -v[156:157]
	v_add_f64 v[20:21], v[34:35], v[20:21]
	v_add_f64 v[10:11], v[14:15], v[10:11]
	;; [unrolled: 1-line block ×3, first 2 shown]
	v_fma_f64 v[26:27], v[158:159], s[22:23], -v[56:57]
	v_add_f64 v[22:23], v[36:37], v[22:23]
	v_fma_f64 v[30:31], v[160:161], s[22:23], v[146:147]
	v_add_f64 v[18:19], v[38:39], v[18:19]
	v_fma_f64 v[42:43], v[160:161], s[24:25], v[225:226]
	v_add_f64 v[183:184], v[213:214], v[183:184]
	v_add_f64 v[203:204], v[227:228], v[203:204]
	v_fma_f64 v[213:214], v[160:161], s[24:25], -v[225:226]
	v_add_f64 v[205:206], v[231:232], v[205:206]
	v_fma_f64 v[34:35], v[158:159], s[22:23], v[56:57]
	v_add_f64 v[32:33], v[58:59], v[32:33]
	v_fma_f64 v[36:37], v[160:161], s[22:23], -v[146:147]
	v_add_f64 v[38:39], v[24:25], v[20:21]
	v_add_f64 v[12:13], v[10:11], v[6:7]
	v_add_f64 v[10:11], v[14:15], v[4:5]
	v_add_f64 v[8:9], v[26:27], v[22:23]
	v_add_f64 v[6:7], v[30:31], v[18:19]
	v_add_f64 v[14:15], v[42:43], v[28:29]
	v_lshl_add_u32 v4, v106, 8, v174
	v_add_f64 v[20:21], v[199:200], v[203:204]
	v_add_f64 v[18:19], v[213:214], v[205:206]
	;; [unrolled: 1-line block ×4, first 2 shown]
	ds_write_b128 v4, v[10:13]
	ds_write_b128 v4, v[6:9] offset:16
	ds_write_b128 v4, v[14:17] offset:32
	;; [unrolled: 1-line block ×16, first 2 shown]
.LBB0_15:
	s_or_b64 exec, exec, s[20:21]
	s_movk_i32 s4, 0xf1
	v_mul_lo_u16_sdwa v4, v106, s4 dst_sel:DWORD dst_unused:UNUSED_PAD src0_sel:BYTE_0 src1_sel:DWORD
	v_lshrrev_b16_e32 v98, 12, v4
	v_mul_lo_u16_e32 v4, 17, v98
	v_sub_u16_e32 v99, v106, v4
	v_mov_b32_e32 v4, 9
	v_mul_u32_u24_sdwa v4, v99, v4 dst_sel:DWORD dst_unused:UNUSED_PAD src0_sel:BYTE_0 src1_sel:DWORD
	v_lshlrev_b32_e32 v40, 4, v4
	s_load_dwordx2 s[2:3], s[2:3], 0x0
	s_waitcnt lgkmcnt(0)
	s_barrier
	global_load_dwordx4 v[4:7], v40, s[12:13]
	global_load_dwordx4 v[8:11], v40, s[12:13] offset:16
	global_load_dwordx4 v[12:15], v40, s[12:13] offset:32
	global_load_dwordx4 v[16:19], v40, s[12:13] offset:48
	global_load_dwordx4 v[20:23], v40, s[12:13] offset:64
	global_load_dwordx4 v[24:27], v40, s[12:13] offset:80
	global_load_dwordx4 v[28:31], v40, s[12:13] offset:96
	global_load_dwordx4 v[32:35], v40, s[12:13] offset:112
	global_load_dwordx4 v[36:39], v40, s[12:13] offset:128
	ds_read_b128 v[40:43], v174
	ds_read_b128 v[44:47], v174 offset:2992
	ds_read_b128 v[48:51], v174 offset:5984
	;; [unrolled: 1-line block ×9, first 2 shown]
	s_mov_b32 s16, 0x134454ff
	s_mov_b32 s17, 0xbfee6f0e
	;; [unrolled: 1-line block ×12, first 2 shown]
	s_waitcnt vmcnt(0) lgkmcnt(0)
	s_barrier
	v_mul_f64 v[80:81], v[46:47], v[6:7]
	v_mul_f64 v[6:7], v[44:45], v[6:7]
	;; [unrolled: 1-line block ×18, first 2 shown]
	v_fma_f64 v[44:45], v[44:45], v[4:5], v[80:81]
	v_fma_f64 v[4:5], v[46:47], v[4:5], -v[6:7]
	v_fma_f64 v[6:7], v[48:49], v[8:9], v[82:83]
	v_fma_f64 v[8:9], v[50:51], v[8:9], -v[10:11]
	;; [unrolled: 2-line block ×6, first 2 shown]
	v_fma_f64 v[26:27], v[74:75], v[32:33], -v[34:35]
	v_fma_f64 v[34:35], v[68:69], v[28:29], v[92:93]
	v_fma_f64 v[28:29], v[70:71], v[28:29], -v[30:31]
	v_fma_f64 v[30:31], v[72:73], v[32:33], v[94:95]
	v_fma_f64 v[32:33], v[76:77], v[36:37], v[96:97]
	v_fma_f64 v[36:37], v[78:79], v[36:37], -v[38:39]
	v_add_f64 v[38:39], v[40:41], v[6:7]
	v_add_f64 v[46:47], v[14:15], v[22:23]
	v_add_f64 v[52:53], v[6:7], -v[14:15]
	v_add_f64 v[62:63], v[42:43], v[8:9]
	v_add_f64 v[64:65], v[16:17], v[24:25]
	v_add_f64 v[54:55], v[30:31], -v[22:23]
	v_add_f64 v[56:57], v[6:7], v[30:31]
	v_add_f64 v[48:49], v[8:9], -v[26:27]
	v_add_f64 v[50:51], v[16:17], -v[24:25]
	;; [unrolled: 1-line block ×6, first 2 shown]
	v_add_f64 v[72:73], v[8:9], v[26:27]
	v_add_f64 v[8:9], v[16:17], -v[8:9]
	v_add_f64 v[14:15], v[38:39], v[14:15]
	v_fma_f64 v[38:39], v[46:47], -0.5, v[40:41]
	v_add_f64 v[46:47], v[52:53], v[54:55]
	v_fma_f64 v[40:41], v[56:57], -0.5, v[40:41]
	;; [unrolled: 2-line block ×3, first 2 shown]
	v_add_f64 v[60:61], v[22:23], -v[30:31]
	v_add_f64 v[70:71], v[26:27], -v[24:25]
	;; [unrolled: 1-line block ×3, first 2 shown]
	v_add_f64 v[78:79], v[18:19], v[34:35]
	v_fma_f64 v[42:43], v[72:73], -0.5, v[42:43]
	v_add_f64 v[14:15], v[14:15], v[22:23]
	v_fma_f64 v[22:23], v[48:49], s[16:17], v[38:39]
	v_fma_f64 v[38:39], v[48:49], s[6:7], v[38:39]
	;; [unrolled: 1-line block ×3, first 2 shown]
	v_add_f64 v[16:17], v[16:17], v[24:25]
	v_fma_f64 v[24:25], v[6:7], s[6:7], v[54:55]
	v_add_f64 v[80:81], v[12:13], -v[36:37]
	v_add_f64 v[52:53], v[58:59], v[60:61]
	v_add_f64 v[56:57], v[68:69], v[70:71]
	v_fma_f64 v[60:61], v[78:79], -0.5, v[44:45]
	v_fma_f64 v[40:41], v[50:51], s[16:17], v[40:41]
	v_fma_f64 v[54:55], v[6:7], s[16:17], v[54:55]
	;; [unrolled: 1-line block ×8, first 2 shown]
	v_add_f64 v[76:77], v[44:45], v[10:11]
	v_add_f64 v[82:83], v[20:21], -v[28:29]
	v_add_f64 v[84:85], v[10:11], -v[18:19]
	v_fma_f64 v[68:69], v[80:81], s[16:17], v[60:61]
	v_fma_f64 v[40:41], v[48:49], s[8:9], v[40:41]
	;; [unrolled: 1-line block ×3, first 2 shown]
	v_add_f64 v[30:31], v[14:15], v[30:31]
	v_add_f64 v[26:27], v[16:17], v[26:27]
	v_fma_f64 v[54:55], v[46:47], s[4:5], v[22:23]
	v_fma_f64 v[38:39], v[46:47], s[4:5], v[38:39]
	;; [unrolled: 1-line block ×4, first 2 shown]
	v_add_f64 v[14:15], v[32:33], -v[34:35]
	v_add_f64 v[16:17], v[10:11], v[32:33]
	v_fma_f64 v[22:23], v[6:7], s[8:9], v[64:65]
	v_add_f64 v[24:25], v[20:21], v[28:29]
	v_add_f64 v[8:9], v[8:9], v[74:75]
	v_fma_f64 v[6:7], v[6:7], s[14:15], v[42:43]
	v_add_f64 v[58:59], v[76:77], v[18:19]
	v_fma_f64 v[40:41], v[52:53], s[4:5], v[40:41]
	v_fma_f64 v[48:49], v[56:57], s[4:5], v[48:49]
	;; [unrolled: 1-line block ×3, first 2 shown]
	v_add_f64 v[14:15], v[84:85], v[14:15]
	v_fma_f64 v[16:17], v[16:17], -0.5, v[44:45]
	v_fma_f64 v[44:45], v[80:81], s[6:7], v[60:61]
	v_fma_f64 v[24:25], v[24:25], -0.5, v[4:5]
	v_add_f64 v[56:57], v[10:11], -v[32:33]
	v_fma_f64 v[60:61], v[8:9], s[4:5], v[6:7]
	v_add_f64 v[6:7], v[12:13], v[36:37]
	v_add_f64 v[42:43], v[58:59], v[34:35]
	v_fma_f64 v[58:59], v[8:9], s[4:5], v[22:23]
	v_fma_f64 v[22:23], v[14:15], s[4:5], v[52:53]
	v_add_f64 v[62:63], v[18:19], -v[34:35]
	v_add_f64 v[64:65], v[12:13], -v[20:21]
	v_fma_f64 v[52:53], v[56:57], s[6:7], v[24:25]
	v_add_f64 v[66:67], v[36:37], -v[28:29]
	v_fma_f64 v[6:7], v[6:7], -0.5, v[4:5]
	v_add_f64 v[4:5], v[4:5], v[12:13]
	v_add_f64 v[42:43], v[42:43], v[32:33]
	v_fma_f64 v[8:9], v[82:83], s[6:7], v[16:17]
	v_add_f64 v[10:11], v[18:19], -v[10:11]
	v_add_f64 v[18:19], v[34:35], -v[32:33]
	v_fma_f64 v[16:17], v[82:83], s[16:17], v[16:17]
	v_fma_f64 v[32:33], v[62:63], s[8:9], v[52:53]
	v_add_f64 v[34:35], v[64:65], v[66:67]
	v_fma_f64 v[52:53], v[62:63], s[16:17], v[6:7]
	v_add_f64 v[12:13], v[20:21], -v[12:13]
	v_add_f64 v[64:65], v[28:29], -v[36:37]
	v_fma_f64 v[6:7], v[62:63], s[6:7], v[6:7]
	v_add_f64 v[4:5], v[4:5], v[20:21]
	v_fma_f64 v[20:21], v[56:57], s[16:17], v[24:25]
	v_fma_f64 v[8:9], v[80:81], s[14:15], v[8:9]
	v_add_f64 v[10:11], v[10:11], v[18:19]
	v_fma_f64 v[16:17], v[80:81], s[8:9], v[16:17]
	v_fma_f64 v[18:19], v[34:35], s[4:5], v[32:33]
	;; [unrolled: 1-line block ×3, first 2 shown]
	v_add_f64 v[12:13], v[12:13], v[64:65]
	v_fma_f64 v[6:7], v[56:57], s[14:15], v[6:7]
	v_fma_f64 v[20:21], v[62:63], s[14:15], v[20:21]
	v_add_f64 v[4:5], v[4:5], v[28:29]
	v_fma_f64 v[28:29], v[10:11], s[4:5], v[8:9]
	v_fma_f64 v[10:11], v[10:11], s[4:5], v[16:17]
	v_mul_f64 v[8:9], v[18:19], s[14:15]
	v_fma_f64 v[44:45], v[82:83], s[8:9], v[44:45]
	v_fma_f64 v[16:17], v[12:13], s[4:5], v[24:25]
	;; [unrolled: 1-line block ×4, first 2 shown]
	v_mul_f64 v[18:19], v[18:19], s[18:19]
	v_fma_f64 v[32:33], v[22:23], s[18:19], v[8:9]
	v_fma_f64 v[14:15], v[14:15], s[4:5], v[44:45]
	v_mul_f64 v[8:9], v[16:17], s[16:17]
	v_mul_f64 v[20:21], v[6:7], s[16:17]
	s_mov_b32 s17, 0xbfd3c6ef
	s_mov_b32 s16, s4
	v_mul_f64 v[24:25], v[12:13], s[14:15]
	s_mov_b32 s15, 0xbfe9e377
	s_mov_b32 s14, s18
	v_mul_f64 v[16:17], v[16:17], s[4:5]
	v_mul_f64 v[6:7], v[6:7], s[16:17]
	;; [unrolled: 1-line block ×3, first 2 shown]
	v_add_f64 v[44:45], v[4:5], v[36:37]
	v_fma_f64 v[34:35], v[28:29], s[4:5], v[8:9]
	v_fma_f64 v[36:37], v[10:11], s[16:17], v[20:21]
	;; [unrolled: 1-line block ×7, first 2 shown]
	v_add_f64 v[4:5], v[30:31], v[42:43]
	v_add_f64 v[8:9], v[54:55], v[32:33]
	;; [unrolled: 1-line block ×10, first 2 shown]
	v_add_f64 v[24:25], v[30:31], -v[42:43]
	v_add_f64 v[28:29], v[54:55], -v[32:33]
	;; [unrolled: 1-line block ×10, first 2 shown]
	v_mov_b32_e32 v45, 4
	v_mul_u32_u24_e32 v44, 0xaa0, v98
	v_lshlrev_b32_sdwa v45, v45, v99 dst_sel:DWORD dst_unused:UNUSED_PAD src0_sel:DWORD src1_sel:BYTE_0
	s_movk_i32 s4, 0xaa
	v_add3_u32 v44, 0, v44, v45
	v_cmp_gt_u32_e32 vcc, s4, v106
	ds_write_b128 v44, v[4:7]
	ds_write_b128 v44, v[8:11] offset:272
	ds_write_b128 v44, v[12:15] offset:544
	;; [unrolled: 1-line block ×9, first 2 shown]
	s_waitcnt lgkmcnt(0)
	s_barrier
	s_and_saveexec_b64 s[4:5], vcc
	s_cbranch_execz .LBB0_17
; %bb.16:
	ds_read_b128 v[4:7], v174
	ds_read_b128 v[8:11], v174 offset:2720
	ds_read_b128 v[12:15], v174 offset:5440
	;; [unrolled: 1-line block ×10, first 2 shown]
.LBB0_17:
	s_or_b64 exec, exec, s[4:5]
	s_waitcnt lgkmcnt(0)
	s_barrier
	s_and_saveexec_b64 s[4:5], vcc
	s_cbranch_execz .LBB0_19
; %bb.18:
	v_add_u32_e32 v44, 0xffffff56, v106
	v_cndmask_b32_e32 v44, v44, v106, vcc
	v_mul_i32_i24_e32 v44, 10, v44
	v_mov_b32_e32 v45, 0
	v_lshlrev_b64 v[44:45], 4, v[44:45]
	v_mov_b32_e32 v46, s13
	v_add_co_u32_e32 v84, vcc, s12, v44
	v_addc_co_u32_e32 v85, vcc, v46, v45, vcc
	global_load_dwordx4 v[44:47], v[84:85], off offset:2512
	global_load_dwordx4 v[48:51], v[84:85], off offset:2528
	;; [unrolled: 1-line block ×10, first 2 shown]
	s_mov_b32 s26, 0xfd768dbf
	s_mov_b32 s27, 0xbfd207e7
	;; [unrolled: 1-line block ×26, first 2 shown]
	s_waitcnt vmcnt(9)
	v_mul_f64 v[84:85], v[26:27], v[46:47]
	s_waitcnt vmcnt(8)
	v_mul_f64 v[86:87], v[30:31], v[50:51]
	v_mul_f64 v[46:47], v[24:25], v[46:47]
	v_mul_f64 v[50:51], v[28:29], v[50:51]
	s_waitcnt vmcnt(7)
	v_mul_f64 v[88:89], v[22:23], v[54:55]
	s_waitcnt vmcnt(6)
	v_mul_f64 v[90:91], v[34:35], v[58:59]
	v_mul_f64 v[54:55], v[20:21], v[54:55]
	v_mul_f64 v[58:59], v[32:33], v[58:59]
	;; [unrolled: 6-line block ×4, first 2 shown]
	v_mul_f64 v[96:97], v[14:15], v[70:71]
	v_mul_f64 v[98:99], v[42:43], v[74:75]
	;; [unrolled: 1-line block ×4, first 2 shown]
	v_fma_f64 v[24:25], v[24:25], v[44:45], v[84:85]
	v_fma_f64 v[28:29], v[28:29], v[48:49], v[86:87]
	v_fma_f64 v[44:45], v[26:27], v[44:45], -v[46:47]
	v_fma_f64 v[46:47], v[30:31], v[48:49], -v[50:51]
	v_fma_f64 v[48:49], v[20:21], v[52:53], v[88:89]
	v_fma_f64 v[50:51], v[22:23], v[52:53], -v[54:55]
	v_fma_f64 v[34:35], v[34:35], v[56:57], -v[58:59]
	v_fma_f64 v[52:53], v[16:17], v[60:61], v[92:93]
	v_fma_f64 v[36:37], v[36:37], v[64:65], v[94:95]
	v_fma_f64 v[54:55], v[18:19], v[60:61], -v[62:63]
	v_fma_f64 v[38:39], v[38:39], v[64:65], -v[66:67]
	v_fma_f64 v[58:59], v[8:9], v[76:77], v[100:101]
	;; [unrolled: 4-line block ×3, first 2 shown]
	v_fma_f64 v[30:31], v[12:13], v[68:69], v[96:97]
	v_fma_f64 v[40:41], v[40:41], v[72:73], v[98:99]
	v_fma_f64 v[56:57], v[14:15], v[68:69], -v[70:71]
	v_fma_f64 v[42:43], v[42:43], v[72:73], -v[74:75]
	v_add_f64 v[82:83], v[58:59], -v[60:61]
	v_add_f64 v[110:111], v[58:59], v[60:61]
	v_add_f64 v[102:103], v[62:63], -v[64:65]
	v_add_f64 v[84:85], v[62:63], v[64:65]
	v_add_f64 v[66:67], v[24:25], -v[28:29]
	v_add_f64 v[78:79], v[30:31], -v[40:41]
	;; [unrolled: 1-line block ×4, first 2 shown]
	v_mul_f64 v[12:13], v[82:83], s[26:27]
	v_add_f64 v[74:75], v[52:53], -v[36:37]
	v_mul_f64 v[16:17], v[102:103], s[26:27]
	v_add_f64 v[80:81], v[56:57], v[42:43]
	v_add_f64 v[96:97], v[54:55], -v[38:39]
	v_add_f64 v[98:99], v[30:31], v[40:41]
	v_mul_f64 v[10:11], v[78:79], s[30:31]
	v_mul_f64 v[22:23], v[100:101], s[30:31]
	v_fma_f64 v[116:117], v[84:85], s[22:23], v[12:13]
	v_add_f64 v[68:69], v[44:45], v[46:47]
	v_fma_f64 v[118:119], v[110:111], s[22:23], -v[16:17]
	v_add_f64 v[72:73], v[50:51], v[34:35]
	v_add_f64 v[76:77], v[54:55], v[38:39]
	v_add_f64 v[92:93], v[50:51], -v[34:35]
	v_add_f64 v[94:95], v[52:53], v[36:37]
	v_mul_f64 v[0:1], v[66:67], s[8:9]
	v_mul_f64 v[2:3], v[70:71], s[16:17]
	;; [unrolled: 1-line block ×4, first 2 shown]
	v_fma_f64 v[126:127], v[80:81], s[24:25], v[10:11]
	v_fma_f64 v[128:129], v[98:99], s[24:25], -v[22:23]
	v_fma_f64 v[12:13], v[84:85], s[22:23], -v[12:13]
	v_add_f64 v[116:117], v[6:7], v[116:117]
	v_add_f64 v[118:119], v[4:5], v[118:119]
	v_add_f64 v[88:89], v[44:45], -v[46:47]
	v_add_f64 v[90:91], v[48:49], v[32:33]
	v_mul_f64 v[18:19], v[92:93], s[16:17]
	v_mul_f64 v[114:115], v[82:83], s[20:21]
	v_fma_f64 v[124:125], v[68:69], s[6:7], v[0:1]
	v_fma_f64 v[130:131], v[72:73], s[14:15], v[2:3]
	;; [unrolled: 1-line block ×3, first 2 shown]
	v_fma_f64 v[136:137], v[94:95], s[18:19], -v[20:21]
	v_fma_f64 v[10:11], v[80:81], s[24:25], -v[10:11]
	v_add_f64 v[12:13], v[6:7], v[12:13]
	v_add_f64 v[116:117], v[126:127], v[116:117]
	;; [unrolled: 1-line block ×3, first 2 shown]
	v_fma_f64 v[128:129], v[68:69], s[6:7], -v[0:1]
	v_fma_f64 v[0:1], v[72:73], s[14:15], -v[2:3]
	v_fma_f64 v[2:3], v[110:111], s[22:23], v[16:17]
	v_add_f64 v[86:87], v[24:25], v[28:29]
	v_mul_f64 v[14:15], v[88:89], s[8:9]
	v_mul_f64 v[112:113], v[78:79], s[34:35]
	;; [unrolled: 1-line block ×3, first 2 shown]
	v_fma_f64 v[126:127], v[90:91], s[14:15], -v[18:19]
	v_fma_f64 v[8:9], v[76:77], s[18:19], -v[8:9]
	v_add_f64 v[10:11], v[10:11], v[12:13]
	v_add_f64 v[12:13], v[132:133], v[116:117]
	;; [unrolled: 1-line block ×3, first 2 shown]
	v_fma_f64 v[22:23], v[98:99], s[24:25], v[22:23]
	v_add_f64 v[2:3], v[4:5], v[2:3]
	v_fma_f64 v[116:117], v[84:85], s[18:19], v[114:115]
	v_mul_f64 v[26:27], v[74:75], s[28:29]
	v_mul_f64 v[120:121], v[100:101], s[34:35]
	v_fma_f64 v[134:135], v[86:87], s[6:7], -v[14:15]
	v_add_f64 v[8:9], v[8:9], v[10:11]
	v_add_f64 v[10:11], v[130:131], v[12:13]
	;; [unrolled: 1-line block ×3, first 2 shown]
	v_fma_f64 v[16:17], v[94:95], s[18:19], v[20:21]
	v_fma_f64 v[20:21], v[80:81], s[6:7], v[112:113]
	v_fma_f64 v[118:119], v[110:111], s[18:19], -v[122:123]
	v_add_f64 v[22:23], v[22:23], v[2:3]
	v_add_f64 v[116:117], v[6:7], v[116:117]
	;; [unrolled: 1-line block ×5, first 2 shown]
	v_mul_f64 v[124:125], v[96:97], s[28:29]
	v_fma_f64 v[10:11], v[98:99], s[6:7], -v[120:121]
	v_add_f64 v[12:13], v[4:5], v[118:119]
	v_add_f64 v[16:17], v[16:17], v[22:23]
	v_mul_f64 v[22:23], v[70:71], s[26:27]
	v_fma_f64 v[114:115], v[84:85], s[18:19], -v[114:115]
	v_fma_f64 v[118:119], v[76:77], s[24:25], v[26:27]
	v_add_f64 v[20:21], v[20:21], v[116:117]
	v_fma_f64 v[18:19], v[90:91], s[14:15], v[18:19]
	v_mul_f64 v[116:117], v[92:93], s[26:27]
	v_fma_f64 v[126:127], v[94:95], s[24:25], -v[124:125]
	v_add_f64 v[10:11], v[10:11], v[12:13]
	v_mul_f64 v[130:131], v[66:67], s[16:17]
	v_fma_f64 v[12:13], v[80:81], s[6:7], -v[112:113]
	v_add_f64 v[112:113], v[6:7], v[114:115]
	v_fma_f64 v[114:115], v[72:73], s[22:23], v[22:23]
	v_add_f64 v[20:21], v[118:119], v[20:21]
	v_fma_f64 v[14:15], v[86:87], s[6:7], v[14:15]
	v_mul_f64 v[118:119], v[88:89], s[16:17]
	v_fma_f64 v[132:133], v[90:91], s[22:23], -v[116:117]
	v_add_f64 v[10:11], v[126:127], v[10:11]
	v_add_f64 v[16:17], v[18:19], v[16:17]
	v_fma_f64 v[18:19], v[76:77], s[24:25], -v[26:27]
	v_add_f64 v[12:13], v[12:13], v[112:113]
	v_fma_f64 v[26:27], v[68:69], s[14:15], v[130:131]
	v_add_f64 v[20:21], v[114:115], v[20:21]
	v_fma_f64 v[112:113], v[110:111], s[18:19], v[122:123]
	v_fma_f64 v[114:115], v[86:87], s[14:15], -v[118:119]
	v_add_f64 v[122:123], v[132:133], v[10:11]
	v_add_f64 v[10:11], v[128:129], v[8:9]
	v_fma_f64 v[22:23], v[72:73], s[22:23], -v[22:23]
	v_add_f64 v[18:19], v[18:19], v[12:13]
	v_add_f64 v[8:9], v[14:15], v[16:17]
	v_fma_f64 v[16:17], v[98:99], s[6:7], v[120:121]
	v_add_f64 v[112:113], v[4:5], v[112:113]
	v_add_f64 v[14:15], v[26:27], v[20:21]
	v_mul_f64 v[26:27], v[82:83], s[8:9]
	v_add_f64 v[12:13], v[114:115], v[122:123]
	v_mul_f64 v[114:115], v[102:103], s[8:9]
	v_add_f64 v[18:19], v[22:23], v[18:19]
	v_fma_f64 v[22:23], v[94:95], s[24:25], v[124:125]
	v_mul_f64 v[122:123], v[100:101], s[36:37]
	v_add_f64 v[16:17], v[16:17], v[112:113]
	v_mul_f64 v[112:113], v[78:79], s[36:37]
	v_fma_f64 v[120:121], v[84:85], s[6:7], v[26:27]
	v_fma_f64 v[20:21], v[68:69], s[14:15], -v[130:131]
	v_fma_f64 v[124:125], v[110:111], s[6:7], -v[114:115]
	v_mul_f64 v[128:129], v[96:97], s[16:17]
	v_mul_f64 v[132:133], v[70:71], s[28:29]
	v_fma_f64 v[130:131], v[98:99], s[22:23], -v[122:123]
	v_add_f64 v[16:17], v[22:23], v[16:17]
	v_fma_f64 v[22:23], v[84:85], s[6:7], -v[26:27]
	v_mul_f64 v[26:27], v[74:75], s[16:17]
	v_fma_f64 v[126:127], v[80:81], s[22:23], v[112:113]
	v_add_f64 v[120:121], v[6:7], v[120:121]
	v_add_f64 v[124:125], v[4:5], v[124:125]
	v_fma_f64 v[112:113], v[80:81], s[22:23], -v[112:113]
	v_fma_f64 v[116:117], v[90:91], s[22:23], v[116:117]
	v_fma_f64 v[136:137], v[94:95], s[14:15], -v[128:129]
	v_add_f64 v[22:23], v[6:7], v[22:23]
	v_fma_f64 v[134:135], v[76:77], s[14:15], v[26:27]
	v_fma_f64 v[26:27], v[76:77], s[14:15], -v[26:27]
	v_add_f64 v[120:121], v[126:127], v[120:121]
	v_mul_f64 v[126:127], v[92:93], s[28:29]
	v_add_f64 v[124:125], v[130:131], v[124:125]
	v_fma_f64 v[130:131], v[72:73], s[24:25], v[132:133]
	v_fma_f64 v[132:133], v[72:73], s[24:25], -v[132:133]
	v_add_f64 v[22:23], v[112:113], v[22:23]
	v_mul_f64 v[112:113], v[66:67], s[20:21]
	v_add_f64 v[16:17], v[116:117], v[16:17]
	v_add_f64 v[120:121], v[134:135], v[120:121]
	v_mul_f64 v[134:135], v[88:89], s[20:21]
	v_fma_f64 v[138:139], v[90:91], s[24:25], -v[126:127]
	v_add_f64 v[124:125], v[136:137], v[124:125]
	v_fma_f64 v[114:115], v[110:111], s[6:7], v[114:115]
	v_add_f64 v[22:23], v[26:27], v[22:23]
	v_fma_f64 v[26:27], v[86:87], s[14:15], v[118:119]
	v_fma_f64 v[116:117], v[68:69], s[18:19], v[112:113]
	v_add_f64 v[118:119], v[130:131], v[120:121]
	v_fma_f64 v[120:121], v[86:87], s[18:19], -v[134:135]
	v_fma_f64 v[112:113], v[68:69], s[18:19], -v[112:113]
	v_add_f64 v[124:125], v[138:139], v[124:125]
	v_add_f64 v[114:115], v[4:5], v[114:115]
	;; [unrolled: 1-line block ×3, first 2 shown]
	s_mov_b32 s17, 0xbfed1bb4
	v_add_f64 v[18:19], v[20:21], v[18:19]
	v_add_f64 v[22:23], v[116:117], v[118:119]
	v_fma_f64 v[116:117], v[98:99], s[22:23], v[122:123]
	v_add_f64 v[16:17], v[26:27], v[16:17]
	v_mul_f64 v[132:133], v[82:83], s[16:17]
	v_add_f64 v[20:21], v[120:121], v[124:125]
	v_add_f64 v[26:27], v[112:113], v[130:131]
	v_mul_f64 v[112:113], v[102:103], s[16:17]
	v_fma_f64 v[124:125], v[94:95], s[14:15], v[128:129]
	v_add_f64 v[62:63], v[6:7], v[62:63]
	v_add_f64 v[114:115], v[116:117], v[114:115]
	v_add_f64 v[58:59], v[4:5], v[58:59]
	v_mul_f64 v[118:119], v[78:79], s[20:21]
	v_mul_f64 v[128:129], v[100:101], s[20:21]
	v_fma_f64 v[122:123], v[86:87], s[18:19], v[134:135]
	v_fma_f64 v[130:131], v[110:111], s[14:15], -v[112:113]
	v_mul_f64 v[134:135], v[74:75], s[36:37]
	v_add_f64 v[56:57], v[62:63], v[56:57]
	v_add_f64 v[114:115], v[124:125], v[114:115]
	v_fma_f64 v[124:125], v[84:85], s[14:15], -v[132:133]
	v_add_f64 v[58:59], v[58:59], v[30:31]
	v_fma_f64 v[136:137], v[80:81], s[18:19], v[118:119]
	v_fma_f64 v[138:139], v[98:99], s[18:19], -v[128:129]
	v_add_f64 v[130:131], v[4:5], v[130:131]
	v_fma_f64 v[118:119], v[80:81], s[18:19], -v[118:119]
	v_add_f64 v[54:55], v[56:57], v[54:55]
	v_fma_f64 v[116:117], v[90:91], s[24:25], v[126:127]
	v_add_f64 v[124:125], v[6:7], v[124:125]
	v_add_f64 v[52:53], v[58:59], v[52:53]
	v_fma_f64 v[142:143], v[76:77], s[22:23], v[134:135]
	v_fma_f64 v[134:135], v[76:77], s[22:23], -v[134:135]
	v_add_f64 v[130:131], v[138:139], v[130:131]
	v_mul_f64 v[138:139], v[66:67], s[30:31]
	v_fma_f64 v[112:113], v[110:111], s[14:15], v[112:113]
	v_mul_f64 v[82:83], v[82:83], s[28:29]
	v_add_f64 v[118:119], v[118:119], v[124:125]
	v_fma_f64 v[120:121], v[84:85], s[14:15], v[132:133]
	v_add_f64 v[50:51], v[54:55], v[50:51]
	v_add_f64 v[48:49], v[52:53], v[48:49]
	;; [unrolled: 1-line block ×3, first 2 shown]
	v_fma_f64 v[116:117], v[68:69], s[24:25], v[138:139]
	v_fma_f64 v[128:129], v[98:99], s[18:19], v[128:129]
	v_add_f64 v[112:113], v[4:5], v[112:113]
	v_add_f64 v[118:119], v[134:135], v[118:119]
	v_fma_f64 v[134:135], v[68:69], s[24:25], -v[138:139]
	v_mul_f64 v[78:79], v[78:79], s[16:17]
	v_fma_f64 v[138:139], v[84:85], s[24:25], v[82:83]
	v_mul_f64 v[52:53], v[102:103], s[28:29]
	v_add_f64 v[120:121], v[6:7], v[120:121]
	v_mul_f64 v[126:127], v[96:97], s[36:37]
	v_fma_f64 v[82:83], v[84:85], s[24:25], -v[82:83]
	v_add_f64 v[44:45], v[50:51], v[44:45]
	v_add_f64 v[24:25], v[48:49], v[24:25]
	;; [unrolled: 1-line block ×3, first 2 shown]
	v_mul_f64 v[74:75], v[74:75], s[8:9]
	v_fma_f64 v[62:63], v[80:81], s[14:15], v[78:79]
	v_add_f64 v[128:129], v[6:7], v[138:139]
	v_mul_f64 v[84:85], v[100:101], s[16:17]
	v_fma_f64 v[48:49], v[110:111], s[24:25], v[52:53]
	v_mul_f64 v[140:141], v[70:71], s[34:35]
	v_add_f64 v[120:121], v[136:137], v[120:121]
	v_fma_f64 v[136:137], v[94:95], s[22:23], -v[126:127]
	v_fma_f64 v[52:53], v[110:111], s[24:25], -v[52:53]
	;; [unrolled: 1-line block ×3, first 2 shown]
	v_add_f64 v[6:7], v[6:7], v[82:83]
	v_add_f64 v[44:45], v[44:45], v[46:47]
	;; [unrolled: 1-line block ×3, first 2 shown]
	v_fma_f64 v[56:57], v[76:77], s[6:7], v[74:75]
	v_add_f64 v[58:59], v[62:63], v[128:129]
	v_mul_f64 v[50:51], v[96:97], s[8:9]
	v_fma_f64 v[80:81], v[98:99], s[14:15], v[84:85]
	v_add_f64 v[28:29], v[4:5], v[48:49]
	v_add_f64 v[130:131], v[136:137], v[130:131]
	v_fma_f64 v[136:137], v[72:73], s[6:7], -v[140:141]
	v_mul_f64 v[70:71], v[70:71], s[20:21]
	v_fma_f64 v[46:47], v[98:99], s[14:15], -v[84:85]
	v_add_f64 v[4:5], v[4:5], v[52:53]
	v_fma_f64 v[48:49], v[76:77], s[6:7], -v[74:75]
	v_add_f64 v[6:7], v[78:79], v[6:7]
	v_add_f64 v[34:35], v[44:45], v[34:35]
	;; [unrolled: 1-line block ×4, first 2 shown]
	v_mul_f64 v[58:59], v[92:93], s[20:21]
	v_fma_f64 v[52:53], v[94:95], s[6:7], v[50:51]
	v_add_f64 v[28:29], v[80:81], v[28:29]
	v_mul_f64 v[132:133], v[92:93], s[34:35]
	v_fma_f64 v[126:127], v[94:95], s[22:23], v[126:127]
	v_add_f64 v[118:119], v[136:137], v[118:119]
	v_mul_f64 v[66:67], v[66:67], s[26:27]
	v_fma_f64 v[32:33], v[94:95], s[6:7], -v[50:51]
	v_add_f64 v[4:5], v[46:47], v[4:5]
	v_fma_f64 v[44:45], v[72:73], s[18:19], -v[70:71]
	v_add_f64 v[6:7], v[48:49], v[6:7]
	v_add_f64 v[34:35], v[34:35], v[38:39]
	;; [unrolled: 1-line block ×3, first 2 shown]
	v_mul_f64 v[56:57], v[88:89], s[26:27]
	v_fma_f64 v[46:47], v[90:91], s[18:19], v[58:59]
	v_add_f64 v[28:29], v[52:53], v[28:29]
	v_add_f64 v[120:121], v[142:143], v[120:121]
	v_mul_f64 v[142:143], v[88:89], s[30:31]
	v_fma_f64 v[146:147], v[90:91], s[6:7], -v[132:133]
	v_fma_f64 v[132:133], v[90:91], s[6:7], v[132:133]
	v_add_f64 v[112:113], v[126:127], v[112:113]
	v_fma_f64 v[144:145], v[72:73], s[6:7], v[140:141]
	v_add_f64 v[30:31], v[134:135], v[118:119]
	v_fma_f64 v[118:119], v[72:73], s[18:19], v[70:71]
	v_fma_f64 v[36:37], v[90:91], s[18:19], -v[58:59]
	v_add_f64 v[4:5], v[32:33], v[4:5]
	v_fma_f64 v[32:33], v[68:69], s[22:23], -v[66:67]
	v_add_f64 v[6:7], v[44:45], v[6:7]
	v_add_f64 v[34:35], v[34:35], v[42:43]
	;; [unrolled: 1-line block ×3, first 2 shown]
	v_fma_f64 v[38:39], v[86:87], s[22:23], v[56:57]
	v_add_f64 v[28:29], v[46:47], v[28:29]
	v_fma_f64 v[62:63], v[86:87], s[24:25], v[142:143]
	v_add_f64 v[112:113], v[132:133], v[112:113]
	v_add_f64 v[120:121], v[144:145], v[120:121]
	v_fma_f64 v[124:125], v[86:87], s[24:25], -v[142:143]
	v_add_f64 v[130:131], v[146:147], v[130:131]
	v_fma_f64 v[40:41], v[68:69], s[22:23], v[66:67]
	v_add_f64 v[42:43], v[118:119], v[54:55]
	v_fma_f64 v[44:45], v[86:87], s[22:23], -v[56:57]
	v_add_f64 v[46:47], v[36:37], v[4:5]
	v_add_f64 v[6:7], v[32:33], v[6:7]
	;; [unrolled: 1-line block ×11, first 2 shown]
	ds_write_b128 v174, v[32:35]
	ds_write_b128 v174, v[4:7] offset:2720
	ds_write_b128 v174, v[28:31] offset:5440
	;; [unrolled: 1-line block ×10, first 2 shown]
.LBB0_19:
	s_or_b64 exec, exec, s[4:5]
	s_waitcnt lgkmcnt(0)
	s_barrier
	ds_read_b128 v[4:7], v174
	s_add_u32 s6, s12, 0x73d0
	v_lshlrev_b32_e32 v0, 4, v106
	s_addc_u32 s7, s13, 0
	v_sub_u32_e32 v14, 0, v0
	v_cmp_ne_u32_e32 vcc, 0, v106
                                        ; implicit-def: $vgpr0_vgpr1
                                        ; implicit-def: $vgpr8_vgpr9
                                        ; implicit-def: $vgpr10_vgpr11
                                        ; implicit-def: $vgpr12_vgpr13
	s_and_saveexec_b64 s[4:5], vcc
	s_xor_b64 s[4:5], exec, s[4:5]
	s_cbranch_execz .LBB0_21
; %bb.20:
	v_mov_b32_e32 v107, 0
	v_lshlrev_b64 v[0:1], 4, v[106:107]
	v_mov_b32_e32 v2, s7
	v_add_co_u32_e32 v0, vcc, s6, v0
	v_addc_co_u32_e32 v1, vcc, v2, v1, vcc
	global_load_dwordx4 v[15:18], v[0:1], off
	ds_read_b128 v[0:3], v14 offset:29920
	s_waitcnt lgkmcnt(0)
	v_add_f64 v[8:9], v[4:5], -v[0:1]
	v_add_f64 v[10:11], v[6:7], v[2:3]
	v_add_f64 v[2:3], v[6:7], -v[2:3]
	v_add_f64 v[0:1], v[4:5], v[0:1]
	v_mul_f64 v[6:7], v[8:9], 0.5
	v_mul_f64 v[4:5], v[10:11], 0.5
	;; [unrolled: 1-line block ×3, first 2 shown]
	s_waitcnt vmcnt(0)
	v_mul_f64 v[8:9], v[6:7], v[17:18]
	v_fma_f64 v[10:11], v[4:5], v[17:18], v[2:3]
	v_fma_f64 v[2:3], v[4:5], v[17:18], -v[2:3]
	v_fma_f64 v[12:13], v[0:1], 0.5, v[8:9]
	v_fma_f64 v[0:1], v[0:1], 0.5, -v[8:9]
	v_fma_f64 v[10:11], -v[15:16], v[6:7], v[10:11]
	v_fma_f64 v[2:3], -v[15:16], v[6:7], v[2:3]
	v_fma_f64 v[8:9], v[4:5], v[15:16], v[12:13]
	v_mov_b32_e32 v12, v106
	v_fma_f64 v[0:1], -v[4:5], v[15:16], v[0:1]
	v_mov_b32_e32 v13, v107
                                        ; implicit-def: $vgpr4_vgpr5
.LBB0_21:
	s_andn2_saveexec_b64 s[4:5], s[4:5]
	s_cbranch_execz .LBB0_23
; %bb.22:
	s_waitcnt lgkmcnt(0)
	v_add_f64 v[8:9], v[4:5], v[6:7]
	v_add_f64 v[0:1], v[4:5], -v[6:7]
	v_mov_b32_e32 v4, 0
	ds_read_b64 v[2:3], v4 offset:14968
	v_mov_b32_e32 v10, 0
	v_mov_b32_e32 v12, 0
	;; [unrolled: 1-line block ×4, first 2 shown]
	s_waitcnt lgkmcnt(0)
	v_xor_b32_e32 v3, 0x80000000, v3
	ds_write_b64 v4, v[2:3] offset:14968
	v_mov_b32_e32 v2, v10
	v_mov_b32_e32 v3, v11
.LBB0_23:
	s_or_b64 exec, exec, s[4:5]
	s_waitcnt lgkmcnt(0)
	v_lshlrev_b64 v[4:5], 4, v[12:13]
	v_mov_b32_e32 v6, s7
	v_add_co_u32_e32 v12, vcc, s6, v4
	v_addc_co_u32_e32 v13, vcc, v6, v5, vcc
	global_load_dwordx4 v[4:7], v[12:13], off offset:2992
	s_movk_i32 s4, 0x1000
	v_add_co_u32_e32 v15, vcc, s4, v12
	v_addc_co_u32_e32 v16, vcc, 0, v13, vcc
	global_load_dwordx4 v[15:18], v[15:16], off offset:1888
	ds_write2_b64 v174, v[8:9], v[10:11] offset1:1
	ds_write_b128 v14, v[0:3] offset:29920
	ds_read_b128 v[0:3], v174 offset:2992
	ds_read_b128 v[8:11], v14 offset:26928
	s_movk_i32 s4, 0x2000
	v_add_co_u32_e32 v12, vcc, s4, v12
	v_addc_co_u32_e32 v13, vcc, 0, v13, vcc
	s_waitcnt lgkmcnt(0)
	v_add_f64 v[19:20], v[0:1], -v[8:9]
	v_add_f64 v[21:22], v[2:3], v[10:11]
	v_add_f64 v[2:3], v[2:3], -v[10:11]
	v_add_f64 v[0:1], v[0:1], v[8:9]
	v_mul_f64 v[10:11], v[19:20], 0.5
	v_mul_f64 v[19:20], v[21:22], 0.5
	;; [unrolled: 1-line block ×3, first 2 shown]
	s_waitcnt vmcnt(1)
	v_mul_f64 v[8:9], v[10:11], v[6:7]
	v_fma_f64 v[21:22], v[19:20], v[6:7], v[2:3]
	v_fma_f64 v[6:7], v[19:20], v[6:7], -v[2:3]
	v_fma_f64 v[23:24], v[0:1], 0.5, v[8:9]
	v_fma_f64 v[8:9], v[0:1], 0.5, -v[8:9]
	global_load_dwordx4 v[0:3], v[12:13], off offset:784
	v_fma_f64 v[21:22], -v[4:5], v[10:11], v[21:22]
	v_fma_f64 v[6:7], -v[4:5], v[10:11], v[6:7]
	v_fma_f64 v[10:11], v[19:20], v[4:5], v[23:24]
	v_fma_f64 v[4:5], -v[19:20], v[4:5], v[8:9]
	v_add_u32_e32 v8, 0x800, v174
	ds_write2_b64 v8, v[10:11], v[21:22] offset0:118 offset1:119
	ds_write_b128 v14, v[4:7] offset:26928
	ds_read_b128 v[4:7], v174 offset:5984
	ds_read_b128 v[8:11], v14 offset:23936
	s_waitcnt lgkmcnt(0)
	v_add_f64 v[19:20], v[4:5], -v[8:9]
	v_add_f64 v[21:22], v[6:7], v[10:11]
	v_add_f64 v[6:7], v[6:7], -v[10:11]
	v_add_f64 v[4:5], v[4:5], v[8:9]
	v_mul_f64 v[10:11], v[19:20], 0.5
	v_mul_f64 v[19:20], v[21:22], 0.5
	;; [unrolled: 1-line block ×3, first 2 shown]
	s_waitcnt vmcnt(1)
	v_mul_f64 v[8:9], v[10:11], v[17:18]
	v_fma_f64 v[21:22], v[19:20], v[17:18], v[6:7]
	v_fma_f64 v[17:18], v[19:20], v[17:18], -v[6:7]
	v_fma_f64 v[23:24], v[4:5], 0.5, v[8:9]
	v_fma_f64 v[8:9], v[4:5], 0.5, -v[8:9]
	global_load_dwordx4 v[4:7], v[12:13], off offset:3776
	v_fma_f64 v[12:13], -v[15:16], v[10:11], v[21:22]
	v_fma_f64 v[10:11], -v[15:16], v[10:11], v[17:18]
	v_fma_f64 v[17:18], v[19:20], v[15:16], v[23:24]
	v_fma_f64 v[8:9], -v[19:20], v[15:16], v[8:9]
	v_add_u32_e32 v15, 0x1000, v174
	ds_write2_b64 v15, v[17:18], v[12:13] offset0:236 offset1:237
	ds_write_b128 v14, v[8:11] offset:23936
	ds_read_b128 v[8:11], v174 offset:8976
	ds_read_b128 v[15:18], v14 offset:20944
	s_waitcnt lgkmcnt(0)
	v_add_f64 v[12:13], v[8:9], -v[15:16]
	v_add_f64 v[19:20], v[10:11], v[17:18]
	v_add_f64 v[10:11], v[10:11], -v[17:18]
	v_add_f64 v[8:9], v[8:9], v[15:16]
	v_mul_f64 v[12:13], v[12:13], 0.5
	v_mul_f64 v[17:18], v[19:20], 0.5
	;; [unrolled: 1-line block ×3, first 2 shown]
	s_waitcnt vmcnt(1)
	v_mul_f64 v[15:16], v[12:13], v[2:3]
	v_fma_f64 v[19:20], v[17:18], v[2:3], v[10:11]
	v_fma_f64 v[2:3], v[17:18], v[2:3], -v[10:11]
	v_fma_f64 v[10:11], v[8:9], 0.5, v[15:16]
	v_fma_f64 v[8:9], v[8:9], 0.5, -v[15:16]
	v_fma_f64 v[15:16], -v[0:1], v[12:13], v[19:20]
	v_fma_f64 v[2:3], -v[0:1], v[12:13], v[2:3]
	v_fma_f64 v[10:11], v[17:18], v[0:1], v[10:11]
	v_fma_f64 v[0:1], -v[17:18], v[0:1], v[8:9]
	v_add_u32_e32 v8, 0x2000, v174
	ds_write2_b64 v8, v[10:11], v[15:16] offset0:98 offset1:99
	ds_write_b128 v14, v[0:3] offset:20944
	ds_read_b128 v[0:3], v174 offset:11968
	ds_read_b128 v[8:11], v14 offset:17952
	s_waitcnt lgkmcnt(0)
	v_add_f64 v[12:13], v[0:1], -v[8:9]
	v_add_f64 v[15:16], v[2:3], v[10:11]
	v_add_f64 v[2:3], v[2:3], -v[10:11]
	v_add_f64 v[0:1], v[0:1], v[8:9]
	v_mul_f64 v[10:11], v[12:13], 0.5
	v_mul_f64 v[12:13], v[15:16], 0.5
	;; [unrolled: 1-line block ×3, first 2 shown]
	s_waitcnt vmcnt(0)
	v_mul_f64 v[8:9], v[10:11], v[6:7]
	v_fma_f64 v[15:16], v[12:13], v[6:7], v[2:3]
	v_fma_f64 v[2:3], v[12:13], v[6:7], -v[2:3]
	v_fma_f64 v[6:7], v[0:1], 0.5, v[8:9]
	v_fma_f64 v[0:1], v[0:1], 0.5, -v[8:9]
	v_fma_f64 v[8:9], -v[4:5], v[10:11], v[15:16]
	v_fma_f64 v[2:3], -v[4:5], v[10:11], v[2:3]
	v_fma_f64 v[6:7], v[12:13], v[4:5], v[6:7]
	v_fma_f64 v[0:1], -v[12:13], v[4:5], v[0:1]
	v_add_u32_e32 v4, 0x2800, v174
	ds_write2_b64 v4, v[6:7], v[8:9] offset0:216 offset1:217
	ds_write_b128 v14, v[0:3] offset:17952
	s_waitcnt lgkmcnt(0)
	s_barrier
	s_and_saveexec_b64 s[4:5], s[0:1]
	s_cbranch_execz .LBB0_26
; %bb.24:
	v_mul_lo_u32 v2, s3, v108
	v_mul_lo_u32 v3, s2, v109
	v_mad_u64_u32 v[0:1], s[0:1], s2, v108, 0
	v_mov_b32_e32 v6, s11
	v_lshl_add_u32 v12, v106, 4, 0
	v_add3_u32 v1, v1, v3, v2
	v_lshlrev_b64 v[0:1], 4, v[0:1]
	v_mov_b32_e32 v107, 0
	v_add_co_u32_e32 v0, vcc, s10, v0
	v_addc_co_u32_e32 v8, vcc, v6, v1, vcc
	v_lshlrev_b64 v[6:7], 4, v[104:105]
	ds_read_b128 v[2:5], v12
	v_add_co_u32_e32 v1, vcc, v0, v6
	v_addc_co_u32_e32 v0, vcc, v8, v7, vcc
	v_lshlrev_b64 v[6:7], 4, v[106:107]
	s_movk_i32 s0, 0xba
	v_add_co_u32_e32 v10, vcc, v1, v6
	v_addc_co_u32_e32 v11, vcc, v0, v7, vcc
	ds_read_b128 v[6:9], v12 offset:2992
	s_waitcnt lgkmcnt(1)
	global_store_dwordx4 v[10:11], v[2:5], off
	s_nop 0
	v_add_u32_e32 v2, 0xbb, v106
	v_mov_b32_e32 v3, v107
	v_lshlrev_b64 v[2:3], 4, v[2:3]
	v_add_co_u32_e32 v2, vcc, v1, v2
	v_addc_co_u32_e32 v3, vcc, v0, v3, vcc
	s_waitcnt lgkmcnt(0)
	global_store_dwordx4 v[2:3], v[6:9], off
	ds_read_b128 v[2:5], v12 offset:5984
	v_add_u32_e32 v6, 0x176, v106
	v_mov_b32_e32 v7, v107
	v_lshlrev_b64 v[6:7], 4, v[6:7]
	v_add_co_u32_e32 v10, vcc, v1, v6
	v_addc_co_u32_e32 v11, vcc, v0, v7, vcc
	ds_read_b128 v[6:9], v12 offset:8976
	s_waitcnt lgkmcnt(1)
	global_store_dwordx4 v[10:11], v[2:5], off
	s_nop 0
	v_add_u32_e32 v2, 0x231, v106
	v_mov_b32_e32 v3, v107
	v_lshlrev_b64 v[2:3], 4, v[2:3]
	v_add_co_u32_e32 v2, vcc, v1, v2
	v_addc_co_u32_e32 v3, vcc, v0, v3, vcc
	s_waitcnt lgkmcnt(0)
	global_store_dwordx4 v[2:3], v[6:9], off
	ds_read_b128 v[2:5], v12 offset:11968
	v_add_u32_e32 v6, 0x2ec, v106
	v_mov_b32_e32 v7, v107
	v_lshlrev_b64 v[6:7], 4, v[6:7]
	;; [unrolled: 17-line block ×4, first 2 shown]
	v_add_co_u32_e32 v10, vcc, v1, v6
	v_addc_co_u32_e32 v11, vcc, v0, v7, vcc
	ds_read_b128 v[6:9], v12 offset:26928
	s_waitcnt lgkmcnt(1)
	global_store_dwordx4 v[10:11], v[2:5], off
	s_nop 0
	v_add_u32_e32 v2, 0x693, v106
	v_mov_b32_e32 v3, v107
	v_lshlrev_b64 v[2:3], 4, v[2:3]
	v_add_co_u32_e32 v2, vcc, v1, v2
	v_addc_co_u32_e32 v3, vcc, v0, v3, vcc
	v_cmp_eq_u32_e32 vcc, s0, v106
	s_waitcnt lgkmcnt(0)
	global_store_dwordx4 v[2:3], v[6:9], off
	s_and_b64 exec, exec, vcc
	s_cbranch_execz .LBB0_26
; %bb.25:
	ds_read_b128 v[2:5], v107 offset:29920
	v_add_co_u32_e32 v6, vcc, 0x7000, v1
	v_addc_co_u32_e32 v7, vcc, 0, v0, vcc
	s_waitcnt lgkmcnt(0)
	global_store_dwordx4 v[6:7], v[2:5], off offset:1248
.LBB0_26:
	s_endpgm
	.section	.rodata,"a",@progbits
	.p2align	6, 0x0
	.amdhsa_kernel fft_rtc_back_len1870_factors_17_10_11_wgs_187_tpt_187_halfLds_dp_op_CI_CI_unitstride_sbrr_R2C_dirReg
		.amdhsa_group_segment_fixed_size 0
		.amdhsa_private_segment_fixed_size 0
		.amdhsa_kernarg_size 104
		.amdhsa_user_sgpr_count 6
		.amdhsa_user_sgpr_private_segment_buffer 1
		.amdhsa_user_sgpr_dispatch_ptr 0
		.amdhsa_user_sgpr_queue_ptr 0
		.amdhsa_user_sgpr_kernarg_segment_ptr 1
		.amdhsa_user_sgpr_dispatch_id 0
		.amdhsa_user_sgpr_flat_scratch_init 0
		.amdhsa_user_sgpr_private_segment_size 0
		.amdhsa_uses_dynamic_stack 0
		.amdhsa_system_sgpr_private_segment_wavefront_offset 0
		.amdhsa_system_sgpr_workgroup_id_x 1
		.amdhsa_system_sgpr_workgroup_id_y 0
		.amdhsa_system_sgpr_workgroup_id_z 0
		.amdhsa_system_sgpr_workgroup_info 0
		.amdhsa_system_vgpr_workitem_id 0
		.amdhsa_next_free_vgpr 251
		.amdhsa_next_free_sgpr 58
		.amdhsa_reserve_vcc 1
		.amdhsa_reserve_flat_scratch 0
		.amdhsa_float_round_mode_32 0
		.amdhsa_float_round_mode_16_64 0
		.amdhsa_float_denorm_mode_32 3
		.amdhsa_float_denorm_mode_16_64 3
		.amdhsa_dx10_clamp 1
		.amdhsa_ieee_mode 1
		.amdhsa_fp16_overflow 0
		.amdhsa_exception_fp_ieee_invalid_op 0
		.amdhsa_exception_fp_denorm_src 0
		.amdhsa_exception_fp_ieee_div_zero 0
		.amdhsa_exception_fp_ieee_overflow 0
		.amdhsa_exception_fp_ieee_underflow 0
		.amdhsa_exception_fp_ieee_inexact 0
		.amdhsa_exception_int_div_zero 0
	.end_amdhsa_kernel
	.text
.Lfunc_end0:
	.size	fft_rtc_back_len1870_factors_17_10_11_wgs_187_tpt_187_halfLds_dp_op_CI_CI_unitstride_sbrr_R2C_dirReg, .Lfunc_end0-fft_rtc_back_len1870_factors_17_10_11_wgs_187_tpt_187_halfLds_dp_op_CI_CI_unitstride_sbrr_R2C_dirReg
                                        ; -- End function
	.section	.AMDGPU.csdata,"",@progbits
; Kernel info:
; codeLenInByte = 14932
; NumSgprs: 62
; NumVgprs: 251
; ScratchSize: 0
; MemoryBound: 0
; FloatMode: 240
; IeeeMode: 1
; LDSByteSize: 0 bytes/workgroup (compile time only)
; SGPRBlocks: 7
; VGPRBlocks: 62
; NumSGPRsForWavesPerEU: 62
; NumVGPRsForWavesPerEU: 251
; Occupancy: 1
; WaveLimiterHint : 1
; COMPUTE_PGM_RSRC2:SCRATCH_EN: 0
; COMPUTE_PGM_RSRC2:USER_SGPR: 6
; COMPUTE_PGM_RSRC2:TRAP_HANDLER: 0
; COMPUTE_PGM_RSRC2:TGID_X_EN: 1
; COMPUTE_PGM_RSRC2:TGID_Y_EN: 0
; COMPUTE_PGM_RSRC2:TGID_Z_EN: 0
; COMPUTE_PGM_RSRC2:TIDIG_COMP_CNT: 0
	.type	__hip_cuid_33885556aaf8e9ab,@object ; @__hip_cuid_33885556aaf8e9ab
	.section	.bss,"aw",@nobits
	.globl	__hip_cuid_33885556aaf8e9ab
__hip_cuid_33885556aaf8e9ab:
	.byte	0                               ; 0x0
	.size	__hip_cuid_33885556aaf8e9ab, 1

	.ident	"AMD clang version 19.0.0git (https://github.com/RadeonOpenCompute/llvm-project roc-6.4.0 25133 c7fe45cf4b819c5991fe208aaa96edf142730f1d)"
	.section	".note.GNU-stack","",@progbits
	.addrsig
	.addrsig_sym __hip_cuid_33885556aaf8e9ab
	.amdgpu_metadata
---
amdhsa.kernels:
  - .args:
      - .actual_access:  read_only
        .address_space:  global
        .offset:         0
        .size:           8
        .value_kind:     global_buffer
      - .offset:         8
        .size:           8
        .value_kind:     by_value
      - .actual_access:  read_only
        .address_space:  global
        .offset:         16
        .size:           8
        .value_kind:     global_buffer
      - .actual_access:  read_only
        .address_space:  global
        .offset:         24
        .size:           8
        .value_kind:     global_buffer
      - .actual_access:  read_only
        .address_space:  global
        .offset:         32
        .size:           8
        .value_kind:     global_buffer
      - .offset:         40
        .size:           8
        .value_kind:     by_value
      - .actual_access:  read_only
        .address_space:  global
        .offset:         48
        .size:           8
        .value_kind:     global_buffer
      - .actual_access:  read_only
        .address_space:  global
        .offset:         56
        .size:           8
        .value_kind:     global_buffer
      - .offset:         64
        .size:           4
        .value_kind:     by_value
      - .actual_access:  read_only
        .address_space:  global
        .offset:         72
        .size:           8
        .value_kind:     global_buffer
      - .actual_access:  read_only
        .address_space:  global
        .offset:         80
        .size:           8
        .value_kind:     global_buffer
      - .actual_access:  read_only
        .address_space:  global
        .offset:         88
        .size:           8
        .value_kind:     global_buffer
      - .actual_access:  write_only
        .address_space:  global
        .offset:         96
        .size:           8
        .value_kind:     global_buffer
    .group_segment_fixed_size: 0
    .kernarg_segment_align: 8
    .kernarg_segment_size: 104
    .language:       OpenCL C
    .language_version:
      - 2
      - 0
    .max_flat_workgroup_size: 187
    .name:           fft_rtc_back_len1870_factors_17_10_11_wgs_187_tpt_187_halfLds_dp_op_CI_CI_unitstride_sbrr_R2C_dirReg
    .private_segment_fixed_size: 0
    .sgpr_count:     62
    .sgpr_spill_count: 0
    .symbol:         fft_rtc_back_len1870_factors_17_10_11_wgs_187_tpt_187_halfLds_dp_op_CI_CI_unitstride_sbrr_R2C_dirReg.kd
    .uniform_work_group_size: 1
    .uses_dynamic_stack: false
    .vgpr_count:     251
    .vgpr_spill_count: 0
    .wavefront_size: 64
amdhsa.target:   amdgcn-amd-amdhsa--gfx906
amdhsa.version:
  - 1
  - 2
...

	.end_amdgpu_metadata
